;; amdgpu-corpus repo=ROCm/rocFFT kind=compiled arch=gfx90a opt=O3
	.text
	.amdgcn_target "amdgcn-amd-amdhsa--gfx90a"
	.amdhsa_code_object_version 6
	.protected	bluestein_single_back_len1296_dim1_dp_op_CI_CI ; -- Begin function bluestein_single_back_len1296_dim1_dp_op_CI_CI
	.globl	bluestein_single_back_len1296_dim1_dp_op_CI_CI
	.p2align	8
	.type	bluestein_single_back_len1296_dim1_dp_op_CI_CI,@function
bluestein_single_back_len1296_dim1_dp_op_CI_CI: ; @bluestein_single_back_len1296_dim1_dp_op_CI_CI
; %bb.0:
	s_load_dwordx4 s[16:19], s[4:5], 0x28
	v_mul_u32_u24_e32 v1, 0x25f, v0
	v_add_u32_sdwa v188, s6, v1 dst_sel:DWORD dst_unused:UNUSED_PAD src0_sel:DWORD src1_sel:WORD_1
	v_mov_b32_e32 v189, 0
	s_waitcnt lgkmcnt(0)
	v_cmp_gt_u64_e32 vcc, s[16:17], v[188:189]
	s_and_saveexec_b64 s[0:1], vcc
	s_cbranch_execz .LBB0_2
; %bb.1:
	s_load_dwordx4 s[0:3], s[4:5], 0x18
	s_load_dwordx4 s[8:11], s[4:5], 0x0
	s_movk_i32 s6, 0x6c
	v_mul_lo_u16_sdwa v1, v1, s6 dst_sel:DWORD dst_unused:UNUSED_PAD src0_sel:WORD_1 src1_sel:DWORD
	v_sub_u16_e32 v194, v0, v1
	s_waitcnt lgkmcnt(0)
	s_load_dwordx4 s[12:15], s[0:1], 0x0
	v_mov_b32_e32 v189, 0xd80
	v_lshlrev_b32_e32 v193, 4, v194
	v_mov_b32_e32 v195, 0xffffc340
	v_pk_mov_b32 v[128:129], s[10:11], s[10:11] op_sel:[0,1]
	s_waitcnt lgkmcnt(0)
	v_mad_u64_u32 v[0:1], s[0:1], s14, v188, 0
	v_mov_b32_e32 v4, v1
	v_mad_u64_u32 v[2:3], s[0:1], s12, v194, 0
	v_mad_u64_u32 v[4:5], s[0:1], s15, v188, v[4:5]
	v_mov_b32_e32 v1, v4
	v_mov_b32_e32 v4, v3
	v_mad_u64_u32 v[4:5], s[0:1], s13, v194, v[4:5]
	v_lshlrev_b64 v[0:1], 4, v[0:1]
	v_mov_b32_e32 v3, v4
	v_mov_b32_e32 v4, s19
	v_add_co_u32_e32 v5, vcc, s18, v0
	v_addc_co_u32_e32 v4, vcc, v4, v1, vcc
	v_lshlrev_b64 v[0:1], 4, v[2:3]
	v_add_co_u32_e32 v0, vcc, v5, v0
	v_addc_co_u32_e32 v1, vcc, v4, v1, vcc
	v_mad_u64_u32 v[8:9], s[0:1], s12, v189, v[0:1]
	global_load_dwordx4 v[48:51], v[0:1], off
	v_mov_b32_e32 v2, s9
	v_add_co_u32_e32 v190, vcc, s8, v193
	global_load_dwordx4 v[4:7], v193, s[8:9]
	s_mul_i32 s0, s13, 0xd80
	v_addc_co_u32_e32 v191, vcc, 0, v2, vcc
	global_load_dwordx4 v[0:3], v193, s[8:9] offset:3456
	v_add_u32_e32 v9, s0, v9
	s_movk_i32 s1, 0x1000
	v_mad_u64_u32 v[12:13], s[14:15], s12, v189, v[8:9]
	v_add_co_u32_e32 v32, vcc, s1, v190
	v_add_u32_e32 v13, s0, v13
	global_load_dwordx4 v[56:59], v[8:9], off
	global_load_dwordx4 v[52:55], v[12:13], off
	v_addc_co_u32_e32 v33, vcc, 0, v191, vcc
	s_movk_i32 s1, 0x2000
	global_load_dwordx4 v[8:11], v[32:33], off offset:2816
	v_mad_u64_u32 v[16:17], s[14:15], s12, v189, v[12:13]
	v_add_co_u32_e32 v40, vcc, s1, v190
	v_add_u32_e32 v17, s0, v17
	v_addc_co_u32_e32 v41, vcc, 0, v191, vcc
	global_load_dwordx4 v[12:15], v[40:41], off offset:2176
	s_movk_i32 s1, 0x3000
	v_mad_u64_u32 v[20:21], s[14:15], s12, v189, v[16:17]
	v_add_co_u32_e32 v44, vcc, s1, v190
	v_add_u32_e32 v21, s0, v21
	global_load_dwordx4 v[60:63], v[16:17], off
	global_load_dwordx4 v[64:67], v[20:21], off
	v_addc_co_u32_e32 v45, vcc, 0, v191, vcc
	s_movk_i32 s1, 0x4000
	global_load_dwordx4 v[16:19], v[44:45], off offset:1536
	v_mad_u64_u32 v[24:25], s[14:15], s12, v189, v[20:21]
	v_add_co_u32_e32 v96, vcc, s1, v190
	v_add_u32_e32 v25, s0, v25
	v_addc_co_u32_e32 v97, vcc, 0, v191, vcc
	global_load_dwordx4 v[20:23], v[96:97], off offset:896
	s_mul_i32 s1, s13, 0xffffc340
	global_load_dwordx4 v[68:71], v[24:25], off
	v_mad_u64_u32 v[28:29], s[14:15], s12, v195, v[24:25]
	s_sub_i32 s1, s1, s12
	v_add_u32_e32 v29, s1, v29
	global_load_dwordx4 v[72:75], v[28:29], off
	global_load_dwordx4 v[24:27], v193, s[8:9] offset:1728
	v_mad_u64_u32 v[34:35], s[8:9], s12, v189, v[28:29]
	v_add_u32_e32 v35, s0, v35
	global_load_dwordx4 v[76:79], v[34:35], off
	global_load_dwordx4 v[28:31], v[32:33], off offset:1088
	v_mad_u64_u32 v[36:37], s[8:9], s12, v189, v[34:35]
	v_add_u32_e32 v37, s0, v37
	global_load_dwordx4 v[80:83], v[36:37], off
	global_load_dwordx4 v[32:35], v[40:41], off offset:448
	;; [unrolled: 4-line block ×5, first 2 shown]
	s_load_dwordx4 s[0:3], s[2:3], 0x0
	v_add_co_u32_e32 v104, vcc, s6, v194
	s_mov_b32 s6, 0xe8584caa
	s_mov_b32 s7, 0x3febb67a
	;; [unrolled: 1-line block ×4, first 2 shown]
	s_movk_i32 s13, 0xab
	s_movk_i32 s12, 0x50
	s_waitcnt vmcnt(22)
	v_mul_f64 v[96:97], v[50:51], v[6:7]
	v_fmac_f64_e32 v[96:97], v[48:49], v[4:5]
	v_mul_f64 v[48:49], v[48:49], v[6:7]
	v_fma_f64 v[98:99], v[50:51], v[4:5], -v[48:49]
	ds_write_b128 v193, v[96:99]
	s_load_dwordx2 s[4:5], s[4:5], 0x38
	s_waitcnt vmcnt(20)
	v_mul_f64 v[48:49], v[58:59], v[2:3]
	v_mul_f64 v[50:51], v[56:57], v[2:3]
	v_fmac_f64_e32 v[48:49], v[56:57], v[0:1]
	v_fma_f64 v[50:51], v[58:59], v[0:1], -v[50:51]
	ds_write_b128 v193, v[48:51] offset:3456
	s_waitcnt vmcnt(18)
	v_mul_f64 v[48:49], v[54:55], v[10:11]
	v_mul_f64 v[50:51], v[52:53], v[10:11]
	v_fmac_f64_e32 v[48:49], v[52:53], v[8:9]
	v_fma_f64 v[50:51], v[54:55], v[8:9], -v[50:51]
	ds_write_b128 v193, v[48:51] offset:6912
	;; [unrolled: 6-line block ×11, first 2 shown]
	s_waitcnt lgkmcnt(0)
	s_barrier
	ds_read_b128 v[48:51], v193
	ds_read_b128 v[52:55], v193 offset:1728
	ds_read_b128 v[56:59], v193 offset:3456
	;; [unrolled: 1-line block ×11, first 2 shown]
	s_waitcnt lgkmcnt(7)
	v_add_f64 v[96:97], v[48:49], v[64:65]
	s_waitcnt lgkmcnt(3)
	v_add_f64 v[98:99], v[64:65], v[80:81]
	v_fmac_f64_e32 v[48:49], -0.5, v[98:99]
	v_add_f64 v[98:99], v[66:67], -v[82:83]
	v_fma_f64 v[100:101], s[6:7], v[98:99], v[48:49]
	v_fmac_f64_e32 v[48:49], s[8:9], v[98:99]
	v_add_f64 v[98:99], v[50:51], v[66:67]
	v_add_f64 v[66:67], v[66:67], v[82:83]
	v_fmac_f64_e32 v[50:51], -0.5, v[66:67]
	v_add_f64 v[64:65], v[64:65], -v[80:81]
	v_fma_f64 v[102:103], s[8:9], v[64:65], v[50:51]
	v_fmac_f64_e32 v[50:51], s[6:7], v[64:65]
	v_add_f64 v[64:65], v[56:57], v[72:73]
	s_waitcnt lgkmcnt(1)
	v_add_f64 v[106:107], v[64:65], v[88:89]
	v_add_f64 v[64:65], v[72:73], v[88:89]
	v_fmac_f64_e32 v[56:57], -0.5, v[64:65]
	v_add_f64 v[64:65], v[74:75], -v[90:91]
	v_add_f64 v[98:99], v[98:99], v[82:83]
	v_fma_f64 v[82:83], s[6:7], v[64:65], v[56:57]
	v_fmac_f64_e32 v[56:57], s[8:9], v[64:65]
	v_add_f64 v[64:65], v[58:59], v[74:75]
	v_add_f64 v[108:109], v[64:65], v[90:91]
	v_add_f64 v[64:65], v[74:75], v[90:91]
	v_fmac_f64_e32 v[58:59], -0.5, v[64:65]
	v_add_f64 v[64:65], v[72:73], -v[88:89]
	v_fma_f64 v[74:75], s[8:9], v[64:65], v[58:59]
	v_fmac_f64_e32 v[58:59], s[6:7], v[64:65]
	v_mul_f64 v[90:91], v[56:57], -0.5
	v_add_f64 v[96:97], v[96:97], v[80:81]
	v_mul_f64 v[88:89], v[74:75], s[6:7]
	v_fmac_f64_e32 v[90:91], s[6:7], v[58:59]
	v_add_f64 v[66:67], v[98:99], v[108:109]
	v_mul_f64 v[112:113], v[58:59], -0.5
	v_add_f64 v[58:59], v[98:99], -v[108:109]
	v_add_f64 v[98:99], v[68:69], v[84:85]
	v_add_f64 v[64:65], v[96:97], v[106:107]
	v_fmac_f64_e32 v[88:89], 0.5, v[82:83]
	v_fmac_f64_e32 v[112:113], s[8:9], v[56:57]
	v_add_f64 v[56:57], v[96:97], -v[106:107]
	v_add_f64 v[96:97], v[52:53], v[68:69]
	v_fmac_f64_e32 v[52:53], -0.5, v[98:99]
	v_add_f64 v[98:99], v[70:71], -v[86:87]
	v_add_f64 v[72:73], v[100:101], v[88:89]
	v_mul_f64 v[110:111], v[82:83], s[8:9]
	v_add_f64 v[88:89], v[100:101], -v[88:89]
	v_fma_f64 v[100:101], s[6:7], v[98:99], v[52:53]
	v_fmac_f64_e32 v[52:53], s[8:9], v[98:99]
	v_add_f64 v[98:99], v[54:55], v[70:71]
	v_add_f64 v[70:71], v[70:71], v[86:87]
	v_fmac_f64_e32 v[110:111], 0.5, v[74:75]
	v_fmac_f64_e32 v[54:55], -0.5, v[70:71]
	v_add_f64 v[68:69], v[68:69], -v[84:85]
	v_add_f64 v[80:81], v[48:49], v[90:91]
	v_add_f64 v[74:75], v[102:103], v[110:111]
	v_add_f64 v[48:49], v[48:49], -v[90:91]
	v_add_f64 v[90:91], v[102:103], -v[110:111]
	v_fma_f64 v[102:103], s[8:9], v[68:69], v[54:55]
	v_fmac_f64_e32 v[54:55], s[6:7], v[68:69]
	v_add_f64 v[68:69], v[60:61], v[76:77]
	s_waitcnt lgkmcnt(0)
	v_add_f64 v[106:107], v[68:69], v[92:93]
	v_add_f64 v[68:69], v[76:77], v[92:93]
	v_fmac_f64_e32 v[60:61], -0.5, v[68:69]
	v_add_f64 v[68:69], v[78:79], -v[94:95]
	v_add_f64 v[98:99], v[98:99], v[86:87]
	v_fma_f64 v[86:87], s[6:7], v[68:69], v[60:61]
	v_fmac_f64_e32 v[60:61], s[8:9], v[68:69]
	v_add_f64 v[68:69], v[62:63], v[78:79]
	v_add_f64 v[108:109], v[68:69], v[94:95]
	v_add_f64 v[68:69], v[78:79], v[94:95]
	v_fmac_f64_e32 v[62:63], -0.5, v[68:69]
	v_add_f64 v[68:69], v[76:77], -v[92:93]
	v_fma_f64 v[78:79], s[8:9], v[68:69], v[62:63]
	v_fmac_f64_e32 v[62:63], s[6:7], v[68:69]
	v_add_f64 v[82:83], v[50:51], v[112:113]
	v_add_f64 v[50:51], v[50:51], -v[112:113]
	v_add_f64 v[96:97], v[96:97], v[84:85]
	v_mul_f64 v[112:113], v[62:63], -0.5
	v_add_f64 v[68:69], v[96:97], v[106:107]
	v_mul_f64 v[94:95], v[60:61], -0.5
	v_fmac_f64_e32 v[112:113], s[8:9], v[60:61]
	v_add_f64 v[60:61], v[96:97], -v[106:107]
	v_mul_lo_u16_e32 v96, 6, v194
	v_lshlrev_b32_e32 v196, 4, v96
	s_barrier
	ds_write_b128 v196, v[64:67]
	ds_write_b128 v196, v[72:75] offset:16
	ds_write_b128 v196, v[80:83] offset:32
	;; [unrolled: 1-line block ×5, first 2 shown]
	v_mul_u32_u24_e32 v48, 6, v104
	v_lshlrev_b32_e32 v197, 4, v48
	v_mul_lo_u16_sdwa v48, v194, s13 dst_sel:DWORD dst_unused:UNUSED_PAD src0_sel:BYTE_0 src1_sel:DWORD
	v_lshrrev_b16_e32 v105, 10, v48
	v_mul_lo_u16_e32 v48, 6, v105
	v_sub_u16_e32 v48, v194, v48
	v_mul_f64 v[92:93], v[78:79], s[6:7]
	v_fmac_f64_e32 v[94:95], s[6:7], v[62:63]
	v_mul_f64 v[110:111], v[86:87], s[8:9]
	v_and_b32_e32 v156, 0xff, v48
	v_mul_lo_u16_sdwa v66, v104, s13 dst_sel:DWORD dst_unused:UNUSED_PAD src0_sel:BYTE_0 src1_sel:DWORD
	v_fmac_f64_e32 v[92:93], 0.5, v[86:87]
	v_add_f64 v[84:85], v[52:53], v[94:95]
	v_add_f64 v[70:71], v[98:99], v[108:109]
	v_fmac_f64_e32 v[110:111], 0.5, v[78:79]
	v_add_f64 v[86:87], v[54:55], v[112:113]
	v_add_f64 v[52:53], v[52:53], -v[94:95]
	v_add_f64 v[62:63], v[98:99], -v[108:109]
	;; [unrolled: 1-line block ×3, first 2 shown]
	v_mad_u64_u32 v[64:65], s[10:11], v156, s12, v[128:129]
	v_lshrrev_b16_e32 v157, 10, v66
	v_add_f64 v[76:77], v[100:101], v[92:93]
	v_add_f64 v[78:79], v[102:103], v[110:111]
	v_add_f64 v[92:93], v[100:101], -v[92:93]
	v_add_f64 v[94:95], v[102:103], -v[110:111]
	ds_write_b128 v197, v[68:71]
	ds_write_b128 v197, v[76:79] offset:16
	ds_write_b128 v197, v[84:87] offset:32
	;; [unrolled: 1-line block ×5, first 2 shown]
	s_waitcnt lgkmcnt(0)
	s_barrier
	global_load_dwordx4 v[60:63], v[64:65], off
	global_load_dwordx4 v[56:59], v[64:65], off offset:16
	global_load_dwordx4 v[52:55], v[64:65], off offset:32
	;; [unrolled: 1-line block ×3, first 2 shown]
	v_mul_lo_u16_e32 v66, 6, v157
	v_sub_u16_e32 v68, v104, v66
	global_load_dwordx4 v[64:67], v[64:65], off offset:64
	v_and_b32_e32 v158, 0xff, v68
	v_mad_u64_u32 v[88:89], s[10:11], v158, s12, v[128:129]
	global_load_dwordx4 v[80:83], v[88:89], off
	global_load_dwordx4 v[76:79], v[88:89], off offset:16
	global_load_dwordx4 v[72:75], v[88:89], off offset:32
	global_load_dwordx4 v[68:71], v[88:89], off offset:48
	global_load_dwordx4 v[84:87], v[88:89], off offset:64
	ds_read_b128 v[88:91], v193
	ds_read_b128 v[92:95], v193 offset:1728
	ds_read_b128 v[96:99], v193 offset:3456
	ds_read_b128 v[100:103], v193 offset:5184
	ds_read_b128 v[106:109], v193 offset:6912
	ds_read_b128 v[110:113], v193 offset:8640
	ds_read_b128 v[114:117], v193 offset:10368
	ds_read_b128 v[118:121], v193 offset:12096
	ds_read_b128 v[122:125], v193 offset:13824
	ds_read_b128 v[130:133], v193 offset:15552
	ds_read_b128 v[134:137], v193 offset:17280
	ds_read_b128 v[138:141], v193 offset:19008
	v_mul_u32_u24_e32 v105, 36, v105
	v_add_lshl_u32 v198, v105, v156, 4
	s_waitcnt lgkmcnt(0)
	s_barrier
	v_mov_b32_e32 v105, 57
	s_waitcnt vmcnt(9)
	v_mul_f64 v[126:127], v[98:99], v[62:63]
	v_fma_f64 v[126:127], v[96:97], v[60:61], -v[126:127]
	v_mul_f64 v[142:143], v[96:97], v[62:63]
	s_waitcnt vmcnt(8)
	v_mul_f64 v[96:97], v[108:109], v[58:59]
	v_fmac_f64_e32 v[142:143], v[98:99], v[60:61]
	v_fma_f64 v[96:97], v[106:107], v[56:57], -v[96:97]
	v_mul_f64 v[98:99], v[106:107], v[58:59]
	s_waitcnt vmcnt(7)
	v_mul_f64 v[106:107], v[116:117], v[54:55]
	v_fmac_f64_e32 v[98:99], v[108:109], v[56:57]
	;; [unrolled: 5-line block ×5, first 2 shown]
	v_fma_f64 v[134:135], v[100:101], v[80:81], -v[134:135]
	v_mul_f64 v[136:137], v[100:101], v[82:83]
	s_waitcnt vmcnt(3)
	v_mul_f64 v[100:101], v[112:113], v[78:79]
	v_fma_f64 v[144:145], v[110:111], v[76:77], -v[100:101]
	s_waitcnt vmcnt(2)
	v_mul_f64 v[100:101], v[120:121], v[74:75]
	v_fma_f64 v[148:149], v[118:119], v[72:73], -v[100:101]
	v_mul_f64 v[118:119], v[118:119], v[74:75]
	s_waitcnt vmcnt(1)
	v_mul_f64 v[100:101], v[132:133], v[70:71]
	v_fmac_f64_e32 v[118:119], v[120:121], v[72:73]
	v_fma_f64 v[120:121], v[130:131], v[68:69], -v[100:101]
	v_mul_f64 v[130:131], v[130:131], v[70:71]
	s_waitcnt vmcnt(0)
	v_mul_f64 v[100:101], v[140:141], v[86:87]
	v_fmac_f64_e32 v[130:131], v[132:133], v[68:69]
	v_fma_f64 v[132:133], v[138:139], v[84:85], -v[100:101]
	v_add_f64 v[100:101], v[88:89], v[96:97]
	v_mul_f64 v[146:147], v[110:111], v[78:79]
	v_add_f64 v[110:111], v[100:101], v[114:115]
	v_add_f64 v[100:101], v[96:97], v[114:115]
	v_fmac_f64_e32 v[88:89], -0.5, v[100:101]
	v_add_f64 v[100:101], v[98:99], -v[116:117]
	v_fmac_f64_e32 v[146:147], v[112:113], v[76:77]
	v_fma_f64 v[112:113], s[6:7], v[100:101], v[88:89]
	v_fmac_f64_e32 v[88:89], s[8:9], v[100:101]
	v_add_f64 v[100:101], v[90:91], v[98:99]
	v_add_f64 v[98:99], v[98:99], v[116:117]
	v_mul_f64 v[138:139], v[138:139], v[86:87]
	v_fmac_f64_e32 v[90:91], -0.5, v[98:99]
	v_add_f64 v[96:97], v[96:97], -v[114:115]
	v_fmac_f64_e32 v[138:139], v[140:141], v[84:85]
	v_add_f64 v[140:141], v[100:101], v[116:117]
	v_fma_f64 v[116:117], s[8:9], v[96:97], v[90:91]
	v_fmac_f64_e32 v[90:91], s[6:7], v[96:97]
	v_add_f64 v[96:97], v[126:127], v[106:107]
	v_add_f64 v[114:115], v[96:97], v[122:123]
	;; [unrolled: 1-line block ×3, first 2 shown]
	v_fmac_f64_e32 v[126:127], -0.5, v[96:97]
	v_add_f64 v[96:97], v[108:109], -v[124:125]
	v_fmac_f64_e32 v[136:137], v[102:103], v[80:81]
	v_fma_f64 v[102:103], s[6:7], v[96:97], v[126:127]
	v_fmac_f64_e32 v[126:127], s[8:9], v[96:97]
	v_add_f64 v[96:97], v[142:143], v[108:109]
	v_add_f64 v[150:151], v[96:97], v[124:125]
	;; [unrolled: 1-line block ×3, first 2 shown]
	v_fmac_f64_e32 v[142:143], -0.5, v[96:97]
	v_add_f64 v[96:97], v[106:107], -v[122:123]
	v_fma_f64 v[108:109], s[8:9], v[96:97], v[142:143]
	v_mul_f64 v[122:123], v[108:109], s[6:7]
	v_fmac_f64_e32 v[142:143], s[6:7], v[96:97]
	v_fmac_f64_e32 v[122:123], 0.5, v[102:103]
	v_mul_f64 v[124:125], v[126:127], -0.5
	v_add_f64 v[96:97], v[110:111], v[114:115]
	v_add_f64 v[100:101], v[112:113], v[122:123]
	v_fmac_f64_e32 v[124:125], s[6:7], v[142:143]
	v_mul_f64 v[142:143], v[142:143], -0.5
	v_add_f64 v[110:111], v[110:111], -v[114:115]
	v_add_f64 v[114:115], v[112:113], -v[122:123]
	v_add_f64 v[122:123], v[92:93], v[144:145]
	v_fmac_f64_e32 v[142:143], s[8:9], v[126:127]
	v_add_f64 v[126:127], v[122:123], v[120:121]
	v_add_f64 v[122:123], v[144:145], v[120:121]
	v_fmac_f64_e32 v[92:93], -0.5, v[122:123]
	v_add_f64 v[122:123], v[146:147], -v[130:131]
	v_add_f64 v[98:99], v[140:141], v[150:151]
	v_mul_f64 v[152:153], v[102:103], s[8:9]
	v_add_f64 v[112:113], v[140:141], -v[150:151]
	v_fma_f64 v[140:141], s[6:7], v[122:123], v[92:93]
	v_fmac_f64_e32 v[92:93], s[8:9], v[122:123]
	v_add_f64 v[122:123], v[94:95], v[146:147]
	v_fmac_f64_e32 v[152:153], 0.5, v[108:109]
	v_add_f64 v[108:109], v[90:91], v[142:143]
	v_add_f64 v[90:91], v[90:91], -v[142:143]
	v_add_f64 v[142:143], v[122:123], v[130:131]
	v_add_f64 v[122:123], v[146:147], v[130:131]
	v_fmac_f64_e32 v[94:95], -0.5, v[122:123]
	v_add_f64 v[120:121], v[144:145], -v[120:121]
	v_fma_f64 v[144:145], s[8:9], v[120:121], v[94:95]
	v_fmac_f64_e32 v[94:95], s[6:7], v[120:121]
	v_add_f64 v[120:121], v[134:135], v[148:149]
	v_add_f64 v[106:107], v[88:89], v[124:125]
	v_add_f64 v[88:89], v[88:89], -v[124:125]
	v_add_f64 v[146:147], v[120:121], v[132:133]
	v_add_f64 v[120:121], v[148:149], v[132:133]
	;; [unrolled: 1-line block ×3, first 2 shown]
	v_add_f64 v[116:117], v[116:117], -v[152:153]
	v_fmac_f64_e32 v[134:135], -0.5, v[120:121]
	v_add_f64 v[120:121], v[118:119], -v[138:139]
	ds_write_b128 v198, v[96:99]
	ds_write_b128 v198, v[100:103] offset:96
	ds_write_b128 v198, v[106:109] offset:192
	;; [unrolled: 1-line block ×5, first 2 shown]
	v_mul_u32_u24_e32 v88, 36, v157
	v_fma_f64 v[124:125], s[6:7], v[120:121], v[134:135]
	v_fmac_f64_e32 v[134:135], s[8:9], v[120:121]
	v_add_f64 v[120:121], v[136:137], v[118:119]
	v_add_f64 v[118:119], v[118:119], v[138:139]
	v_add_lshl_u32 v199, v88, v158, 4
	v_mul_lo_u16_sdwa v88, v194, v105 dst_sel:DWORD dst_unused:UNUSED_PAD src0_sel:BYTE_0 src1_sel:DWORD
	v_fmac_f64_e32 v[136:137], -0.5, v[118:119]
	v_add_f64 v[118:119], v[148:149], -v[132:133]
	v_lshrrev_b16_e32 v192, 11, v88
	v_fma_f64 v[132:133], s[8:9], v[118:119], v[136:137]
	v_fmac_f64_e32 v[136:137], s[6:7], v[118:119]
	v_mul_lo_u16_e32 v88, 36, v192
	v_mul_f64 v[148:149], v[134:135], -0.5
	v_mul_f64 v[154:155], v[136:137], -0.5
	v_sub_u16_e32 v88, v194, v88
	v_add_f64 v[150:151], v[120:121], v[138:139]
	v_mul_f64 v[138:139], v[132:133], s[6:7]
	v_fmac_f64_e32 v[148:149], s[6:7], v[136:137]
	v_mul_f64 v[152:153], v[124:125], s[8:9]
	v_fmac_f64_e32 v[154:155], s[8:9], v[134:135]
	v_and_b32_e32 v206, 0xff, v88
	v_mul_lo_u16_sdwa v105, v104, v105 dst_sel:DWORD dst_unused:UNUSED_PAD src0_sel:BYTE_0 src1_sel:DWORD
	v_add_f64 v[118:119], v[126:127], v[146:147]
	v_fmac_f64_e32 v[138:139], 0.5, v[124:125]
	v_add_f64 v[130:131], v[92:93], v[148:149]
	v_add_f64 v[120:121], v[142:143], v[150:151]
	v_fmac_f64_e32 v[152:153], 0.5, v[132:133]
	v_add_f64 v[132:133], v[94:95], v[154:155]
	v_add_f64 v[92:93], v[92:93], -v[148:149]
	v_add_f64 v[94:95], v[94:95], -v[154:155]
	v_mad_u64_u32 v[106:107], s[10:11], v206, s12, v[128:129]
	v_lshrrev_b16_e32 v207, 11, v105
	v_add_f64 v[122:123], v[140:141], v[138:139]
	v_add_f64 v[124:125], v[144:145], v[152:153]
	v_add_f64 v[134:135], v[126:127], -v[146:147]
	v_add_f64 v[138:139], v[140:141], -v[138:139]
	;; [unrolled: 1-line block ×4, first 2 shown]
	ds_write_b128 v199, v[118:121]
	ds_write_b128 v199, v[122:125] offset:96
	ds_write_b128 v199, v[130:133] offset:192
	;; [unrolled: 1-line block ×5, first 2 shown]
	s_waitcnt lgkmcnt(0)
	s_barrier
	global_load_dwordx4 v[100:103], v[106:107], off offset:480
	global_load_dwordx4 v[96:99], v[106:107], off offset:496
	;; [unrolled: 1-line block ×4, first 2 shown]
	v_mul_lo_u16_e32 v105, 36, v207
	v_sub_u16_e32 v108, v104, v105
	global_load_dwordx4 v[104:107], v[106:107], off offset:544
	v_and_b32_e32 v208, 0xff, v108
	v_mad_u64_u32 v[124:125], s[10:11], v208, s12, v[128:129]
	global_load_dwordx4 v[120:123], v[124:125], off offset:480
	global_load_dwordx4 v[116:119], v[124:125], off offset:496
	;; [unrolled: 1-line block ×4, first 2 shown]
	s_nop 0
	global_load_dwordx4 v[124:127], v[124:125], off offset:544
	ds_read_b128 v[130:133], v193
	ds_read_b128 v[134:137], v193 offset:1728
	ds_read_b128 v[138:141], v193 offset:3456
	;; [unrolled: 1-line block ×11, first 2 shown]
	s_waitcnt lgkmcnt(0)
	s_barrier
	s_waitcnt vmcnt(9)
	v_mul_f64 v[178:179], v[140:141], v[102:103]
	v_fma_f64 v[178:179], v[138:139], v[100:101], -v[178:179]
	v_mul_f64 v[180:181], v[138:139], v[102:103]
	s_waitcnt vmcnt(8)
	v_mul_f64 v[138:139], v[148:149], v[98:99]
	v_fmac_f64_e32 v[180:181], v[140:141], v[100:101]
	v_fma_f64 v[138:139], v[146:147], v[96:97], -v[138:139]
	v_mul_f64 v[140:141], v[146:147], v[98:99]
	s_waitcnt vmcnt(7)
	v_mul_f64 v[146:147], v[156:157], v[94:95]
	v_fmac_f64_e32 v[140:141], v[148:149], v[96:97]
	;; [unrolled: 5-line block ×5, first 2 shown]
	v_fma_f64 v[170:171], v[142:143], v[120:121], -v[170:171]
	v_mul_f64 v[172:173], v[142:143], v[122:123]
	s_waitcnt vmcnt(3)
	v_mul_f64 v[142:143], v[152:153], v[118:119]
	v_fma_f64 v[182:183], v[150:151], v[116:117], -v[142:143]
	s_waitcnt vmcnt(2)
	v_mul_f64 v[142:143], v[160:161], v[114:115]
	v_fma_f64 v[186:187], v[158:159], v[112:113], -v[142:143]
	v_mul_f64 v[158:159], v[158:159], v[114:115]
	s_waitcnt vmcnt(1)
	v_mul_f64 v[142:143], v[168:169], v[110:111]
	v_fmac_f64_e32 v[158:159], v[160:161], v[112:113]
	v_fma_f64 v[160:161], v[166:167], v[108:109], -v[142:143]
	v_mul_f64 v[166:167], v[166:167], v[110:111]
	s_waitcnt vmcnt(0)
	v_mul_f64 v[142:143], v[176:177], v[126:127]
	v_fmac_f64_e32 v[166:167], v[168:169], v[108:109]
	v_fma_f64 v[168:169], v[174:175], v[124:125], -v[142:143]
	v_add_f64 v[142:143], v[130:131], v[138:139]
	v_mul_f64 v[184:185], v[150:151], v[118:119]
	v_add_f64 v[150:151], v[142:143], v[154:155]
	v_add_f64 v[142:143], v[138:139], v[154:155]
	v_fmac_f64_e32 v[130:131], -0.5, v[142:143]
	v_add_f64 v[142:143], v[140:141], -v[156:157]
	v_fmac_f64_e32 v[184:185], v[152:153], v[116:117]
	v_fma_f64 v[152:153], s[6:7], v[142:143], v[130:131]
	v_fmac_f64_e32 v[130:131], s[8:9], v[142:143]
	v_add_f64 v[142:143], v[132:133], v[140:141]
	v_add_f64 v[140:141], v[140:141], v[156:157]
	v_mul_f64 v[174:175], v[174:175], v[126:127]
	v_fmac_f64_e32 v[132:133], -0.5, v[140:141]
	v_add_f64 v[138:139], v[138:139], -v[154:155]
	v_fmac_f64_e32 v[174:175], v[176:177], v[124:125]
	v_add_f64 v[176:177], v[142:143], v[156:157]
	v_fma_f64 v[156:157], s[8:9], v[138:139], v[132:133]
	v_fmac_f64_e32 v[132:133], s[6:7], v[138:139]
	v_add_f64 v[138:139], v[178:179], v[146:147]
	v_add_f64 v[154:155], v[138:139], v[162:163]
	;; [unrolled: 1-line block ×3, first 2 shown]
	v_fmac_f64_e32 v[178:179], -0.5, v[138:139]
	v_add_f64 v[138:139], v[148:149], -v[164:165]
	v_fmac_f64_e32 v[172:173], v[144:145], v[120:121]
	v_fma_f64 v[144:145], s[6:7], v[138:139], v[178:179]
	v_fmac_f64_e32 v[178:179], s[8:9], v[138:139]
	v_add_f64 v[138:139], v[180:181], v[148:149]
	v_add_f64 v[200:201], v[138:139], v[164:165]
	;; [unrolled: 1-line block ×3, first 2 shown]
	v_fmac_f64_e32 v[180:181], -0.5, v[138:139]
	v_add_f64 v[138:139], v[146:147], -v[162:163]
	v_fma_f64 v[148:149], s[8:9], v[138:139], v[180:181]
	v_mul_f64 v[162:163], v[148:149], s[6:7]
	v_fmac_f64_e32 v[162:163], 0.5, v[144:145]
	v_fmac_f64_e32 v[180:181], s[6:7], v[138:139]
	v_add_f64 v[138:139], v[150:151], v[154:155]
	v_add_f64 v[142:143], v[152:153], v[162:163]
	v_add_f64 v[150:151], v[150:151], -v[154:155]
	v_add_f64 v[154:155], v[152:153], -v[162:163]
	v_add_f64 v[162:163], v[134:135], v[182:183]
	v_mul_f64 v[164:165], v[178:179], -0.5
	v_add_f64 v[140:141], v[176:177], v[200:201]
	v_add_f64 v[152:153], v[176:177], -v[200:201]
	v_add_f64 v[176:177], v[162:163], v[160:161]
	v_add_f64 v[162:163], v[182:183], v[160:161]
	v_fmac_f64_e32 v[164:165], s[6:7], v[180:181]
	v_mul_f64 v[180:181], v[180:181], -0.5
	v_fmac_f64_e32 v[134:135], -0.5, v[162:163]
	v_add_f64 v[162:163], v[184:185], -v[166:167]
	v_mul_f64 v[202:203], v[144:145], s[8:9]
	v_fmac_f64_e32 v[180:181], s[8:9], v[178:179]
	v_fma_f64 v[178:179], s[6:7], v[162:163], v[134:135]
	v_fmac_f64_e32 v[134:135], s[8:9], v[162:163]
	v_add_f64 v[162:163], v[136:137], v[184:185]
	v_fmac_f64_e32 v[202:203], 0.5, v[148:149]
	v_add_f64 v[148:149], v[132:133], v[180:181]
	v_add_f64 v[132:133], v[132:133], -v[180:181]
	v_add_f64 v[180:181], v[162:163], v[166:167]
	v_add_f64 v[162:163], v[184:185], v[166:167]
	v_fmac_f64_e32 v[136:137], -0.5, v[162:163]
	v_add_f64 v[160:161], v[182:183], -v[160:161]
	v_fma_f64 v[182:183], s[8:9], v[160:161], v[136:137]
	v_fmac_f64_e32 v[136:137], s[6:7], v[160:161]
	v_add_f64 v[160:161], v[170:171], v[186:187]
	v_add_f64 v[184:185], v[160:161], v[168:169]
	;; [unrolled: 1-line block ×3, first 2 shown]
	v_fmac_f64_e32 v[170:171], -0.5, v[160:161]
	v_add_f64 v[160:161], v[158:159], -v[174:175]
	v_add_f64 v[146:147], v[130:131], v[164:165]
	v_add_f64 v[130:131], v[130:131], -v[164:165]
	v_fma_f64 v[164:165], s[6:7], v[160:161], v[170:171]
	v_fmac_f64_e32 v[170:171], s[8:9], v[160:161]
	v_add_f64 v[160:161], v[172:173], v[158:159]
	v_add_f64 v[158:159], v[158:159], v[174:175]
	v_fmac_f64_e32 v[172:173], -0.5, v[158:159]
	v_add_f64 v[158:159], v[186:187], -v[168:169]
	v_fma_f64 v[168:169], s[8:9], v[158:159], v[172:173]
	v_add_f64 v[200:201], v[160:161], v[174:175]
	v_mul_f64 v[174:175], v[168:169], s[6:7]
	v_fmac_f64_e32 v[174:175], 0.5, v[164:165]
	v_fmac_f64_e32 v[172:173], s[6:7], v[158:159]
	v_add_f64 v[162:163], v[178:179], v[174:175]
	v_mul_f64 v[186:187], v[170:171], -0.5
	v_add_f64 v[174:175], v[178:179], -v[174:175]
	v_mul_u32_u24_e32 v178, 0xd8, v192
	v_fmac_f64_e32 v[186:187], s[6:7], v[172:173]
	v_add_f64 v[160:161], v[180:181], v[200:201]
	v_mul_f64 v[204:205], v[172:173], -0.5
	v_add_f64 v[172:173], v[180:181], -v[200:201]
	v_add_lshl_u32 v200, v178, v206, 4
	v_add_f64 v[144:145], v[156:157], v[202:203]
	v_add_f64 v[156:157], v[156:157], -v[202:203]
	v_mul_f64 v[202:203], v[164:165], s[8:9]
	v_fmac_f64_e32 v[204:205], s[8:9], v[170:171]
	ds_write_b128 v200, v[138:141]
	ds_write_b128 v200, v[142:145] offset:576
	ds_write_b128 v200, v[146:149] offset:1152
	;; [unrolled: 1-line block ×5, first 2 shown]
	v_mul_u32_u24_e32 v130, 0xd8, v207
	v_add_f64 v[158:159], v[176:177], v[184:185]
	v_add_f64 v[166:167], v[134:135], v[186:187]
	v_fmac_f64_e32 v[202:203], 0.5, v[168:169]
	v_add_f64 v[168:169], v[136:137], v[204:205]
	v_add_f64 v[134:135], v[134:135], -v[186:187]
	v_add_f64 v[136:137], v[136:137], -v[204:205]
	v_add_lshl_u32 v201, v130, v208, 4
	v_mad_u64_u32 v[148:149], s[10:11], v194, s12, v[128:129]
	v_add_f64 v[164:165], v[182:183], v[202:203]
	v_add_f64 v[170:171], v[176:177], -v[184:185]
	v_add_f64 v[176:177], v[182:183], -v[202:203]
	ds_write_b128 v201, v[158:161]
	ds_write_b128 v201, v[162:165] offset:576
	ds_write_b128 v201, v[166:169] offset:1152
	;; [unrolled: 1-line block ×5, first 2 shown]
	s_waitcnt lgkmcnt(0)
	s_barrier
	global_load_dwordx4 v[140:143], v[148:149], off offset:3360
	global_load_dwordx4 v[136:139], v[148:149], off offset:3376
	;; [unrolled: 1-line block ×5, first 2 shown]
	s_movk_i32 s10, 0x21c0
	v_add_co_u32_e32 v164, vcc, s10, v148
	v_addc_co_u32_e32 v165, vcc, 0, v149, vcc
	global_load_dwordx4 v[160:163], v[164:165], off offset:3360
	global_load_dwordx4 v[156:159], v[164:165], off offset:3376
	;; [unrolled: 1-line block ×4, first 2 shown]
	s_nop 0
	global_load_dwordx4 v[164:167], v[164:165], off offset:3424
	ds_read_b128 v[168:171], v193
	ds_read_b128 v[172:175], v193 offset:1728
	ds_read_b128 v[176:179], v193 offset:3456
	;; [unrolled: 1-line block ×11, first 2 shown]
	s_movk_i32 s10, 0x5000
	s_waitcnt vmcnt(9) lgkmcnt(9)
	v_mul_f64 v[230:231], v[178:179], v[142:143]
	v_fma_f64 v[230:231], v[176:177], v[140:141], -v[230:231]
	v_mul_f64 v[232:233], v[176:177], v[142:143]
	s_waitcnt vmcnt(8) lgkmcnt(7)
	v_mul_f64 v[176:177], v[186:187], v[138:139]
	v_fmac_f64_e32 v[232:233], v[178:179], v[140:141]
	v_fma_f64 v[176:177], v[184:185], v[136:137], -v[176:177]
	v_mul_f64 v[178:179], v[184:185], v[138:139]
	s_waitcnt vmcnt(7) lgkmcnt(5)
	v_mul_f64 v[184:185], v[208:209], v[134:135]
	v_fmac_f64_e32 v[178:179], v[186:187], v[136:137]
	;; [unrolled: 5-line block ×4, first 2 shown]
	v_fma_f64 v[214:215], v[222:223], v[144:145], -v[214:215]
	v_mul_f64 v[216:217], v[222:223], v[146:147]
	s_waitcnt vmcnt(4)
	v_mul_f64 v[222:223], v[182:183], v[162:163]
	v_fmac_f64_e32 v[216:217], v[224:225], v[144:145]
	v_fma_f64 v[222:223], v[180:181], v[160:161], -v[222:223]
	v_mul_f64 v[224:225], v[180:181], v[162:163]
	s_waitcnt vmcnt(3)
	v_mul_f64 v[180:181], v[204:205], v[158:159]
	v_fma_f64 v[234:235], v[202:203], v[156:157], -v[180:181]
	s_waitcnt vmcnt(2)
	v_mul_f64 v[180:181], v[212:213], v[154:155]
	v_fma_f64 v[238:239], v[210:211], v[152:153], -v[180:181]
	v_mul_f64 v[210:211], v[210:211], v[154:155]
	s_waitcnt vmcnt(1)
	v_mul_f64 v[180:181], v[220:221], v[150:151]
	v_fmac_f64_e32 v[210:211], v[212:213], v[152:153]
	v_fma_f64 v[212:213], v[218:219], v[148:149], -v[180:181]
	v_mul_f64 v[218:219], v[218:219], v[150:151]
	s_waitcnt vmcnt(0) lgkmcnt(0)
	v_mul_f64 v[180:181], v[228:229], v[166:167]
	v_fmac_f64_e32 v[218:219], v[220:221], v[148:149]
	v_fma_f64 v[220:221], v[226:227], v[164:165], -v[180:181]
	v_add_f64 v[180:181], v[168:169], v[176:177]
	v_mul_f64 v[236:237], v[202:203], v[158:159]
	v_add_f64 v[202:203], v[180:181], v[206:207]
	v_add_f64 v[180:181], v[176:177], v[206:207]
	v_fmac_f64_e32 v[168:169], -0.5, v[180:181]
	v_add_f64 v[180:181], v[178:179], -v[208:209]
	v_fmac_f64_e32 v[236:237], v[204:205], v[156:157]
	v_fma_f64 v[204:205], s[6:7], v[180:181], v[168:169]
	v_fmac_f64_e32 v[168:169], s[8:9], v[180:181]
	v_add_f64 v[180:181], v[170:171], v[178:179]
	v_add_f64 v[178:179], v[178:179], v[208:209]
	v_mul_f64 v[226:227], v[226:227], v[166:167]
	v_fmac_f64_e32 v[170:171], -0.5, v[178:179]
	v_add_f64 v[176:177], v[176:177], -v[206:207]
	v_fmac_f64_e32 v[226:227], v[228:229], v[164:165]
	v_add_f64 v[228:229], v[180:181], v[208:209]
	v_fma_f64 v[208:209], s[8:9], v[176:177], v[170:171]
	v_fmac_f64_e32 v[170:171], s[6:7], v[176:177]
	v_add_f64 v[176:177], v[230:231], v[184:185]
	v_add_f64 v[206:207], v[176:177], v[214:215]
	;; [unrolled: 1-line block ×3, first 2 shown]
	v_fmac_f64_e32 v[230:231], -0.5, v[176:177]
	v_add_f64 v[176:177], v[186:187], -v[216:217]
	v_fma_f64 v[178:179], s[6:7], v[176:177], v[230:231]
	v_fmac_f64_e32 v[230:231], s[8:9], v[176:177]
	v_add_f64 v[176:177], v[232:233], v[186:187]
	v_add_f64 v[240:241], v[176:177], v[216:217]
	;; [unrolled: 1-line block ×3, first 2 shown]
	v_fmac_f64_e32 v[232:233], -0.5, v[176:177]
	v_add_f64 v[176:177], v[184:185], -v[214:215]
	v_fmac_f64_e32 v[224:225], v[182:183], v[160:161]
	v_fma_f64 v[182:183], s[8:9], v[176:177], v[232:233]
	v_mul_f64 v[214:215], v[182:183], s[6:7]
	v_fmac_f64_e32 v[214:215], 0.5, v[178:179]
	v_fmac_f64_e32 v[232:233], s[6:7], v[176:177]
	v_add_f64 v[176:177], v[202:203], v[206:207]
	v_add_f64 v[180:181], v[204:205], v[214:215]
	v_add_f64 v[202:203], v[202:203], -v[206:207]
	v_add_f64 v[206:207], v[204:205], -v[214:215]
	v_add_f64 v[214:215], v[172:173], v[234:235]
	v_mul_f64 v[216:217], v[230:231], -0.5
	v_mul_f64 v[242:243], v[178:179], s[8:9]
	v_add_f64 v[178:179], v[228:229], v[240:241]
	v_add_f64 v[204:205], v[228:229], -v[240:241]
	v_add_f64 v[228:229], v[214:215], v[212:213]
	v_add_f64 v[214:215], v[234:235], v[212:213]
	v_fmac_f64_e32 v[216:217], s[6:7], v[232:233]
	v_mul_f64 v[232:233], v[232:233], -0.5
	v_fmac_f64_e32 v[172:173], -0.5, v[214:215]
	v_add_f64 v[214:215], v[236:237], -v[218:219]
	v_fmac_f64_e32 v[232:233], s[8:9], v[230:231]
	v_fma_f64 v[230:231], s[6:7], v[214:215], v[172:173]
	v_fmac_f64_e32 v[172:173], s[8:9], v[214:215]
	v_add_f64 v[214:215], v[174:175], v[236:237]
	v_add_f64 v[186:187], v[170:171], v[232:233]
	v_add_f64 v[170:171], v[170:171], -v[232:233]
	v_add_f64 v[232:233], v[214:215], v[218:219]
	v_add_f64 v[214:215], v[236:237], v[218:219]
	v_fmac_f64_e32 v[174:175], -0.5, v[214:215]
	v_add_f64 v[212:213], v[234:235], -v[212:213]
	v_fma_f64 v[234:235], s[8:9], v[212:213], v[174:175]
	v_fmac_f64_e32 v[174:175], s[6:7], v[212:213]
	v_add_f64 v[212:213], v[222:223], v[238:239]
	v_add_f64 v[236:237], v[212:213], v[220:221]
	;; [unrolled: 1-line block ×3, first 2 shown]
	v_fmac_f64_e32 v[222:223], -0.5, v[212:213]
	v_add_f64 v[212:213], v[210:211], -v[226:227]
	v_add_f64 v[184:185], v[168:169], v[216:217]
	v_add_f64 v[168:169], v[168:169], -v[216:217]
	v_fma_f64 v[216:217], s[6:7], v[212:213], v[222:223]
	v_fmac_f64_e32 v[222:223], s[8:9], v[212:213]
	v_add_f64 v[212:213], v[224:225], v[210:211]
	v_add_f64 v[210:211], v[210:211], v[226:227]
	v_fmac_f64_e32 v[224:225], -0.5, v[210:211]
	v_add_f64 v[210:211], v[238:239], -v[220:221]
	v_fmac_f64_e32 v[242:243], 0.5, v[182:183]
	v_add_f64 v[240:241], v[212:213], v[226:227]
	v_fma_f64 v[212:213], s[8:9], v[210:211], v[224:225]
	v_fmac_f64_e32 v[224:225], s[6:7], v[210:211]
	v_add_f64 v[182:183], v[208:209], v[242:243]
	v_add_f64 v[208:209], v[208:209], -v[242:243]
	v_mul_f64 v[226:227], v[212:213], s[6:7]
	v_mul_f64 v[238:239], v[222:223], -0.5
	v_mul_f64 v[242:243], v[216:217], s[8:9]
	v_mul_f64 v[244:245], v[224:225], -0.5
	v_fmac_f64_e32 v[226:227], 0.5, v[216:217]
	v_fmac_f64_e32 v[238:239], s[6:7], v[224:225]
	v_fmac_f64_e32 v[242:243], 0.5, v[212:213]
	v_fmac_f64_e32 v[244:245], s[8:9], v[222:223]
	v_add_f64 v[210:211], v[228:229], v[236:237]
	v_add_f64 v[214:215], v[230:231], v[226:227]
	;; [unrolled: 1-line block ×6, first 2 shown]
	v_add_f64 v[222:223], v[228:229], -v[236:237]
	v_add_f64 v[226:227], v[230:231], -v[226:227]
	v_add_f64 v[172:173], v[172:173], -v[238:239]
	v_add_f64 v[224:225], v[232:233], -v[240:241]
	v_add_f64 v[228:229], v[234:235], -v[242:243]
	v_add_f64 v[174:175], v[174:175], -v[244:245]
	ds_write_b128 v193, v[176:179]
	ds_write_b128 v193, v[180:183] offset:3456
	ds_write_b128 v193, v[184:187] offset:6912
	;; [unrolled: 1-line block ×11, first 2 shown]
	v_add_co_u32_e32 v168, vcc, s10, v190
	v_addc_co_u32_e32 v169, vcc, 0, v191, vcc
	s_waitcnt lgkmcnt(0)
	s_barrier
	global_load_dwordx4 v[168:171], v[168:169], off offset:256
	s_movk_i32 s10, 0x5100
	v_add_co_u32_e32 v206, vcc, s10, v190
	v_addc_co_u32_e32 v207, vcc, 0, v191, vcc
	global_load_dwordx4 v[172:175], v[206:207], off offset:3456
	s_movk_i32 s10, 0x6000
	v_add_co_u32_e32 v210, vcc, s10, v190
	v_addc_co_u32_e32 v211, vcc, 0, v191, vcc
	s_movk_i32 s10, 0x7000
	global_load_dwordx4 v[176:179], v[210:211], off offset:3072
	v_add_co_u32_e32 v214, vcc, s10, v190
	v_addc_co_u32_e32 v215, vcc, 0, v191, vcc
	global_load_dwordx4 v[180:183], v[214:215], off offset:2432
	s_mov_b32 s10, 0x8000
	v_add_co_u32_e32 v222, vcc, s10, v190
	v_addc_co_u32_e32 v223, vcc, 0, v191, vcc
	global_load_dwordx4 v[184:187], v[222:223], off offset:1792
	s_mov_b32 s10, 0x9000
	v_add_co_u32_e32 v190, vcc, s10, v190
	v_addc_co_u32_e32 v191, vcc, 0, v191, vcc
	global_load_dwordx4 v[202:205], v[190:191], off offset:1152
	s_nop 0
	global_load_dwordx4 v[206:209], v[206:207], off offset:1728
	s_nop 0
	;; [unrolled: 2-line block ×6, first 2 shown]
	global_load_dwordx4 v[226:229], v[190:191], off offset:2880
	ds_read_b128 v[230:233], v193
	ds_read_b128 v[238:241], v193 offset:3456
	v_mad_u64_u32 v[190:191], s[10:11], s2, v188, 0
	v_mov_b32_e32 v192, v191
	s_waitcnt vmcnt(11) lgkmcnt(1)
	v_mul_f64 v[234:235], v[232:233], v[170:171]
	v_mul_f64 v[236:237], v[230:231], v[170:171]
	v_fma_f64 v[234:235], v[230:231], v[168:169], -v[234:235]
	v_fmac_f64_e32 v[236:237], v[232:233], v[168:169]
	ds_write_b128 v193, v[234:237]
	ds_read_b128 v[234:237], v193 offset:6912
	s_waitcnt vmcnt(10) lgkmcnt(2)
	v_mul_f64 v[230:231], v[240:241], v[174:175]
	v_mul_f64 v[232:233], v[238:239], v[174:175]
	v_fma_f64 v[230:231], v[238:239], v[172:173], -v[230:231]
	v_fmac_f64_e32 v[232:233], v[240:241], v[172:173]
	ds_read_b128 v[238:241], v193 offset:10368
	ds_write_b128 v193, v[230:233] offset:3456
	ds_read_b128 v[168:171], v193 offset:1728
	ds_read_b128 v[172:175], v193 offset:5184
	s_waitcnt vmcnt(9) lgkmcnt(4)
	v_mul_f64 v[230:231], v[236:237], v[178:179]
	v_mul_f64 v[232:233], v[234:235], v[178:179]
	v_fma_f64 v[230:231], v[234:235], v[176:177], -v[230:231]
	v_fmac_f64_e32 v[232:233], v[236:237], v[176:177]
	ds_write_b128 v193, v[230:233] offset:6912
	s_waitcnt vmcnt(8) lgkmcnt(4)
	v_mul_f64 v[230:231], v[240:241], v[182:183]
	ds_read_b128 v[234:237], v193 offset:13824
	v_mul_f64 v[232:233], v[238:239], v[182:183]
	v_fma_f64 v[230:231], v[238:239], v[180:181], -v[230:231]
	v_fmac_f64_e32 v[232:233], v[240:241], v[180:181]
	ds_read_b128 v[238:241], v193 offset:17280
	ds_read_b128 v[176:179], v193 offset:8640
	;; [unrolled: 1-line block ×3, first 2 shown]
	ds_write_b128 v193, v[230:233] offset:10368
	s_waitcnt vmcnt(7) lgkmcnt(4)
	v_mul_f64 v[230:231], v[236:237], v[186:187]
	v_mul_f64 v[232:233], v[234:235], v[186:187]
	v_fma_f64 v[230:231], v[234:235], v[184:185], -v[230:231]
	v_fmac_f64_e32 v[232:233], v[236:237], v[184:185]
	s_waitcnt vmcnt(6) lgkmcnt(3)
	v_mul_f64 v[234:235], v[240:241], v[204:205]
	v_mul_f64 v[236:237], v[238:239], v[204:205]
	v_fma_f64 v[234:235], v[238:239], v[202:203], -v[234:235]
	v_fmac_f64_e32 v[236:237], v[240:241], v[202:203]
	s_waitcnt vmcnt(5)
	v_mul_f64 v[202:203], v[170:171], v[208:209]
	v_mul_f64 v[204:205], v[168:169], v[208:209]
	v_fma_f64 v[202:203], v[168:169], v[206:207], -v[202:203]
	v_fmac_f64_e32 v[204:205], v[170:171], v[206:207]
	s_waitcnt vmcnt(4)
	v_mul_f64 v[168:169], v[174:175], v[212:213]
	v_mul_f64 v[170:171], v[172:173], v[212:213]
	ds_read_b128 v[184:187], v193 offset:15552
	v_fma_f64 v[168:169], v[172:173], v[210:211], -v[168:169]
	v_fmac_f64_e32 v[170:171], v[174:175], v[210:211]
	ds_write_b128 v193, v[168:171] offset:5184
	s_waitcnt vmcnt(3) lgkmcnt(4)
	v_mul_f64 v[168:169], v[178:179], v[216:217]
	v_mul_f64 v[170:171], v[176:177], v[216:217]
	ds_write_b128 v193, v[230:233] offset:13824
	ds_read_b128 v[230:233], v193 offset:19008
	v_fma_f64 v[168:169], v[176:177], v[214:215], -v[168:169]
	v_fmac_f64_e32 v[170:171], v[178:179], v[214:215]
	ds_write_b128 v193, v[168:171] offset:8640
	s_waitcnt vmcnt(2) lgkmcnt(6)
	v_mul_f64 v[168:169], v[182:183], v[220:221]
	v_mul_f64 v[170:171], v[180:181], v[220:221]
	v_fma_f64 v[168:169], v[180:181], v[218:219], -v[168:169]
	v_fmac_f64_e32 v[170:171], v[182:183], v[218:219]
	ds_write_b128 v193, v[168:171] offset:12096
	s_waitcnt vmcnt(1) lgkmcnt(5)
	v_mul_f64 v[168:169], v[186:187], v[224:225]
	v_mul_f64 v[170:171], v[184:185], v[224:225]
	;; [unrolled: 6-line block ×3, first 2 shown]
	v_fma_f64 v[168:169], v[230:231], v[226:227], -v[168:169]
	v_fmac_f64_e32 v[170:171], v[232:233], v[226:227]
	ds_write_b128 v193, v[234:237] offset:17280
	ds_write_b128 v193, v[202:205] offset:1728
	ds_write_b128 v193, v[168:171] offset:19008
	s_waitcnt lgkmcnt(0)
	s_barrier
	ds_read_b128 v[168:171], v193
	ds_read_b128 v[172:175], v193 offset:1728
	ds_read_b128 v[176:179], v193 offset:3456
	;; [unrolled: 1-line block ×11, first 2 shown]
	s_waitcnt lgkmcnt(7)
	v_add_f64 v[230:231], v[168:169], v[184:185]
	s_waitcnt lgkmcnt(3)
	v_add_f64 v[232:233], v[184:185], v[214:215]
	v_fmac_f64_e32 v[168:169], -0.5, v[232:233]
	v_add_f64 v[232:233], v[186:187], -v[216:217]
	v_fma_f64 v[234:235], s[8:9], v[232:233], v[168:169]
	v_fmac_f64_e32 v[168:169], s[6:7], v[232:233]
	v_add_f64 v[232:233], v[170:171], v[186:187]
	v_add_f64 v[186:187], v[186:187], v[216:217]
	v_fmac_f64_e32 v[170:171], -0.5, v[186:187]
	v_add_f64 v[184:185], v[184:185], -v[214:215]
	v_fma_f64 v[236:237], s[6:7], v[184:185], v[170:171]
	v_fmac_f64_e32 v[170:171], s[8:9], v[184:185]
	v_add_f64 v[184:185], v[176:177], v[206:207]
	v_add_f64 v[230:231], v[230:231], v[214:215]
	s_waitcnt lgkmcnt(1)
	v_add_f64 v[214:215], v[184:185], v[222:223]
	v_add_f64 v[184:185], v[206:207], v[222:223]
	v_fmac_f64_e32 v[176:177], -0.5, v[184:185]
	v_add_f64 v[184:185], v[208:209], -v[224:225]
	v_fma_f64 v[186:187], s[8:9], v[184:185], v[176:177]
	v_fmac_f64_e32 v[176:177], s[6:7], v[184:185]
	v_add_f64 v[184:185], v[178:179], v[208:209]
	v_add_f64 v[232:233], v[232:233], v[216:217]
	;; [unrolled: 1-line block ×4, first 2 shown]
	v_fmac_f64_e32 v[178:179], -0.5, v[184:185]
	v_add_f64 v[184:185], v[206:207], -v[222:223]
	v_fma_f64 v[208:209], s[6:7], v[184:185], v[178:179]
	v_mul_f64 v[222:223], v[208:209], s[8:9]
	v_mul_f64 v[238:239], v[208:209], 0.5
	v_fmac_f64_e32 v[222:223], 0.5, v[186:187]
	v_fmac_f64_e32 v[238:239], s[6:7], v[186:187]
	v_add_f64 v[186:187], v[232:233], v[216:217]
	v_add_f64 v[216:217], v[232:233], -v[216:217]
	v_add_f64 v[232:233], v[202:203], v[218:219]
	v_fmac_f64_e32 v[178:179], s[8:9], v[184:185]
	v_add_f64 v[184:185], v[230:231], v[214:215]
	v_add_f64 v[214:215], v[230:231], -v[214:215]
	v_add_f64 v[230:231], v[172:173], v[202:203]
	v_fmac_f64_e32 v[172:173], -0.5, v[232:233]
	v_add_f64 v[232:233], v[204:205], -v[220:221]
	v_add_f64 v[206:207], v[234:235], v[222:223]
	v_mul_f64 v[224:225], v[178:179], s[8:9]
	v_add_f64 v[222:223], v[234:235], -v[222:223]
	v_fma_f64 v[234:235], s[8:9], v[232:233], v[172:173]
	v_fmac_f64_e32 v[172:173], s[6:7], v[232:233]
	v_add_f64 v[232:233], v[174:175], v[204:205]
	v_add_f64 v[204:205], v[204:205], v[220:221]
	v_fmac_f64_e32 v[224:225], -0.5, v[176:177]
	v_mul_f64 v[240:241], v[178:179], -0.5
	v_fmac_f64_e32 v[174:175], -0.5, v[204:205]
	v_add_f64 v[202:203], v[202:203], -v[218:219]
	v_fmac_f64_e32 v[240:241], s[6:7], v[176:177]
	v_add_f64 v[176:177], v[168:169], v[224:225]
	v_add_f64 v[208:209], v[236:237], v[238:239]
	v_add_f64 v[168:169], v[168:169], -v[224:225]
	v_add_f64 v[224:225], v[236:237], -v[238:239]
	v_fma_f64 v[236:237], s[6:7], v[202:203], v[174:175]
	v_fmac_f64_e32 v[174:175], s[8:9], v[202:203]
	v_add_f64 v[202:203], v[180:181], v[210:211]
	v_add_f64 v[230:231], v[230:231], v[218:219]
	s_waitcnt lgkmcnt(0)
	v_add_f64 v[218:219], v[202:203], v[226:227]
	v_add_f64 v[202:203], v[210:211], v[226:227]
	v_fmac_f64_e32 v[180:181], -0.5, v[202:203]
	v_add_f64 v[202:203], v[212:213], -v[228:229]
	v_fma_f64 v[204:205], s[8:9], v[202:203], v[180:181]
	v_fmac_f64_e32 v[180:181], s[6:7], v[202:203]
	v_add_f64 v[202:203], v[182:183], v[212:213]
	v_add_f64 v[232:233], v[232:233], v[220:221]
	;; [unrolled: 1-line block ×4, first 2 shown]
	v_fmac_f64_e32 v[182:183], -0.5, v[202:203]
	v_add_f64 v[202:203], v[210:211], -v[226:227]
	v_fma_f64 v[212:213], s[6:7], v[202:203], v[182:183]
	v_fmac_f64_e32 v[182:183], s[8:9], v[202:203]
	v_add_f64 v[178:179], v[170:171], v[240:241]
	v_add_f64 v[170:171], v[170:171], -v[240:241]
	v_mul_f64 v[226:227], v[212:213], s[8:9]
	v_mul_f64 v[228:229], v[182:183], s[8:9]
	v_mul_f64 v[238:239], v[212:213], 0.5
	v_mul_f64 v[240:241], v[182:183], -0.5
	v_fmac_f64_e32 v[226:227], 0.5, v[204:205]
	v_fmac_f64_e32 v[228:229], -0.5, v[180:181]
	v_fmac_f64_e32 v[238:239], s[6:7], v[204:205]
	v_fmac_f64_e32 v[240:241], s[6:7], v[180:181]
	v_add_f64 v[202:203], v[230:231], v[218:219]
	v_add_f64 v[210:211], v[234:235], v[226:227]
	;; [unrolled: 1-line block ×6, first 2 shown]
	v_add_f64 v[218:219], v[230:231], -v[218:219]
	v_add_f64 v[226:227], v[234:235], -v[226:227]
	;; [unrolled: 1-line block ×6, first 2 shown]
	s_barrier
	ds_write_b128 v196, v[184:187]
	ds_write_b128 v196, v[206:209] offset:16
	ds_write_b128 v196, v[176:179] offset:32
	;; [unrolled: 1-line block ×5, first 2 shown]
	ds_write_b128 v197, v[202:205]
	ds_write_b128 v197, v[210:213] offset:16
	ds_write_b128 v197, v[180:183] offset:32
	;; [unrolled: 1-line block ×5, first 2 shown]
	s_waitcnt lgkmcnt(0)
	s_barrier
	ds_read_b128 v[172:175], v193
	ds_read_b128 v[168:171], v193 offset:1728
	ds_read_b128 v[176:179], v193 offset:3456
	;; [unrolled: 1-line block ×11, first 2 shown]
	s_waitcnt lgkmcnt(9)
	v_mul_f64 v[196:197], v[62:63], v[178:179]
	v_mul_f64 v[62:63], v[62:63], v[176:177]
	v_fmac_f64_e32 v[196:197], v[60:61], v[176:177]
	v_fma_f64 v[60:61], v[60:61], v[178:179], -v[62:63]
	s_waitcnt lgkmcnt(7)
	v_mul_f64 v[62:63], v[58:59], v[186:187]
	v_mul_f64 v[58:59], v[58:59], v[184:185]
	v_fmac_f64_e32 v[62:63], v[56:57], v[184:185]
	v_fma_f64 v[56:57], v[56:57], v[186:187], -v[58:59]
	;; [unrolled: 5-line block ×5, first 2 shown]
	v_mul_f64 v[176:177], v[82:83], v[182:183]
	v_mul_f64 v[66:67], v[82:83], v[180:181]
	v_fmac_f64_e32 v[176:177], v[80:81], v[180:181]
	v_fma_f64 v[82:83], v[80:81], v[182:183], -v[66:67]
	v_mul_f64 v[80:81], v[78:79], v[204:205]
	v_mul_f64 v[66:67], v[78:79], v[202:203]
	v_fmac_f64_e32 v[80:81], v[76:77], v[202:203]
	v_fma_f64 v[76:77], v[76:77], v[204:205], -v[66:67]
	;; [unrolled: 4-line block ×4, first 2 shown]
	s_waitcnt lgkmcnt(0)
	v_mul_f64 v[180:181], v[86:87], v[228:229]
	v_mul_f64 v[66:67], v[86:87], v[226:227]
	v_add_f64 v[68:69], v[62:63], v[54:55]
	v_fmac_f64_e32 v[180:181], v[84:85], v[226:227]
	v_fma_f64 v[84:85], v[84:85], v[228:229], -v[66:67]
	v_add_f64 v[66:67], v[172:173], v[62:63]
	v_fmac_f64_e32 v[172:173], -0.5, v[68:69]
	v_add_f64 v[68:69], v[56:57], -v[48:49]
	v_fma_f64 v[70:71], s[8:9], v[68:69], v[172:173]
	v_fmac_f64_e32 v[172:173], s[6:7], v[68:69]
	v_add_f64 v[68:69], v[174:175], v[56:57]
	v_add_f64 v[86:87], v[68:69], v[48:49]
	;; [unrolled: 1-line block ×3, first 2 shown]
	v_fmac_f64_e32 v[174:175], -0.5, v[48:49]
	v_add_f64 v[48:49], v[62:63], -v[54:55]
	v_fma_f64 v[182:183], s[6:7], v[48:49], v[174:175]
	v_fmac_f64_e32 v[174:175], s[8:9], v[48:49]
	v_add_f64 v[48:49], v[196:197], v[58:59]
	v_add_f64 v[62:63], v[48:49], v[50:51]
	;; [unrolled: 1-line block ×3, first 2 shown]
	v_fmac_f64_e32 v[196:197], -0.5, v[48:49]
	v_add_f64 v[48:49], v[52:53], -v[64:65]
	v_add_f64 v[66:67], v[66:67], v[54:55]
	v_fma_f64 v[54:55], s[8:9], v[48:49], v[196:197]
	v_fmac_f64_e32 v[196:197], s[6:7], v[48:49]
	v_add_f64 v[48:49], v[60:61], v[52:53]
	v_add_f64 v[184:185], v[48:49], v[64:65]
	v_add_f64 v[48:49], v[52:53], v[64:65]
	v_fmac_f64_e32 v[60:61], -0.5, v[48:49]
	v_add_f64 v[48:49], v[58:59], -v[50:51]
	v_fma_f64 v[58:59], s[6:7], v[48:49], v[60:61]
	v_fmac_f64_e32 v[60:61], s[8:9], v[48:49]
	v_mul_f64 v[68:69], v[60:61], s[8:9]
	v_fmac_f64_e32 v[68:69], -0.5, v[196:197]
	v_mul_f64 v[64:65], v[58:59], s[8:9]
	v_add_f64 v[56:57], v[172:173], v[68:69]
	v_mul_f64 v[202:203], v[60:61], -0.5
	v_add_f64 v[68:69], v[172:173], -v[68:69]
	v_add_f64 v[172:173], v[80:81], v[74:75]
	v_add_f64 v[48:49], v[66:67], v[62:63]
	v_fmac_f64_e32 v[64:65], 0.5, v[54:55]
	v_add_f64 v[50:51], v[86:87], v[184:185]
	v_fmac_f64_e32 v[202:203], s[6:7], v[196:197]
	v_add_f64 v[60:61], v[66:67], -v[62:63]
	v_add_f64 v[62:63], v[86:87], -v[184:185]
	v_add_f64 v[86:87], v[168:169], v[80:81]
	v_fmac_f64_e32 v[168:169], -0.5, v[172:173]
	v_add_f64 v[172:173], v[76:77], -v[178:179]
	v_add_f64 v[52:53], v[70:71], v[64:65]
	v_mul_f64 v[186:187], v[58:59], 0.5
	v_add_f64 v[58:59], v[174:175], v[202:203]
	v_add_f64 v[64:65], v[70:71], -v[64:65]
	v_add_f64 v[70:71], v[174:175], -v[202:203]
	v_fma_f64 v[174:175], s[8:9], v[172:173], v[168:169]
	v_fmac_f64_e32 v[168:169], s[6:7], v[172:173]
	v_add_f64 v[172:173], v[170:171], v[76:77]
	v_add_f64 v[76:77], v[76:77], v[178:179]
	v_fmac_f64_e32 v[186:187], s[6:7], v[54:55]
	v_add_f64 v[86:87], v[86:87], v[74:75]
	v_fmac_f64_e32 v[170:171], -0.5, v[76:77]
	v_add_f64 v[74:75], v[80:81], -v[74:75]
	v_add_f64 v[54:55], v[182:183], v[186:187]
	v_add_f64 v[66:67], v[182:183], -v[186:187]
	v_add_f64 v[182:183], v[172:173], v[178:179]
	v_fma_f64 v[178:179], s[6:7], v[74:75], v[170:171]
	v_fmac_f64_e32 v[170:171], s[8:9], v[74:75]
	v_add_f64 v[74:75], v[176:177], v[78:79]
	v_add_f64 v[172:173], v[74:75], v[180:181]
	;; [unrolled: 1-line block ×3, first 2 shown]
	v_fmac_f64_e32 v[176:177], -0.5, v[74:75]
	v_add_f64 v[74:75], v[72:73], -v[84:85]
	v_fma_f64 v[184:185], s[8:9], v[74:75], v[176:177]
	v_fmac_f64_e32 v[176:177], s[6:7], v[74:75]
	v_add_f64 v[74:75], v[82:83], v[72:73]
	v_add_f64 v[72:73], v[72:73], v[84:85]
	v_fmac_f64_e32 v[82:83], -0.5, v[72:73]
	v_add_f64 v[72:73], v[78:79], -v[180:181]
	v_fma_f64 v[78:79], s[6:7], v[72:73], v[82:83]
	v_fmac_f64_e32 v[82:83], s[8:9], v[72:73]
	v_mul_f64 v[180:181], v[78:79], s[8:9]
	v_mul_f64 v[202:203], v[78:79], 0.5
	v_fmac_f64_e32 v[180:181], 0.5, v[184:185]
	v_mul_f64 v[196:197], v[82:83], s[8:9]
	v_fmac_f64_e32 v[202:203], s[6:7], v[184:185]
	v_mul_f64 v[184:185], v[82:83], -0.5
	v_add_f64 v[186:187], v[74:75], v[84:85]
	v_fmac_f64_e32 v[196:197], -0.5, v[176:177]
	v_fmac_f64_e32 v[184:185], s[6:7], v[176:177]
	v_add_f64 v[72:73], v[86:87], v[172:173]
	v_add_f64 v[76:77], v[174:175], v[180:181]
	;; [unrolled: 1-line block ×6, first 2 shown]
	v_add_f64 v[84:85], v[86:87], -v[172:173]
	v_add_f64 v[172:173], v[174:175], -v[180:181]
	;; [unrolled: 1-line block ×6, first 2 shown]
	s_barrier
	ds_write_b128 v198, v[48:51]
	ds_write_b128 v198, v[52:55] offset:96
	ds_write_b128 v198, v[56:59] offset:192
	;; [unrolled: 1-line block ×5, first 2 shown]
	ds_write_b128 v199, v[72:75]
	ds_write_b128 v199, v[76:79] offset:96
	ds_write_b128 v199, v[80:83] offset:192
	ds_write_b128 v199, v[84:87] offset:288
	ds_write_b128 v199, v[172:175] offset:384
	ds_write_b128 v199, v[168:171] offset:480
	s_waitcnt lgkmcnt(0)
	s_barrier
	ds_read_b128 v[52:55], v193
	ds_read_b128 v[48:51], v193 offset:1728
	ds_read_b128 v[56:59], v193 offset:3456
	;; [unrolled: 1-line block ×11, first 2 shown]
	s_waitcnt lgkmcnt(9)
	v_mul_f64 v[176:177], v[102:103], v[58:59]
	v_fmac_f64_e32 v[176:177], v[100:101], v[56:57]
	v_mul_f64 v[56:57], v[102:103], v[56:57]
	v_fma_f64 v[100:101], v[100:101], v[58:59], -v[56:57]
	s_waitcnt lgkmcnt(7)
	v_mul_f64 v[56:57], v[98:99], v[66:67]
	v_mul_f64 v[58:59], v[98:99], v[64:65]
	v_fmac_f64_e32 v[56:57], v[96:97], v[64:65]
	v_fma_f64 v[58:59], v[96:97], v[66:67], -v[58:59]
	s_waitcnt lgkmcnt(5)
	v_mul_f64 v[64:65], v[94:95], v[74:75]
	v_mul_f64 v[66:67], v[94:95], v[72:73]
	v_fmac_f64_e32 v[64:65], v[92:93], v[72:73]
	;; [unrolled: 5-line block ×3, first 2 shown]
	v_fma_f64 v[74:75], v[88:89], v[82:83], -v[74:75]
	v_mul_f64 v[88:89], v[122:123], v[62:63]
	v_fmac_f64_e32 v[88:89], v[120:121], v[60:61]
	v_mul_f64 v[60:61], v[122:123], v[60:61]
	v_fma_f64 v[90:91], v[120:121], v[62:63], -v[60:61]
	v_mul_f64 v[60:61], v[118:119], v[68:69]
	v_fma_f64 v[94:95], v[116:117], v[70:71], -v[60:61]
	v_mul_f64 v[96:97], v[114:115], v[78:79]
	v_mul_f64 v[60:61], v[114:115], v[76:77]
	v_fmac_f64_e32 v[96:97], v[112:113], v[76:77]
	v_fma_f64 v[76:77], v[112:113], v[78:79], -v[60:61]
	s_waitcnt lgkmcnt(2)
	v_mul_f64 v[78:79], v[110:111], v[86:87]
	v_mul_f64 v[60:61], v[110:111], v[84:85]
	v_fmac_f64_e32 v[78:79], v[108:109], v[84:85]
	v_fma_f64 v[84:85], v[108:109], v[86:87], -v[60:61]
	s_waitcnt lgkmcnt(0)
	v_mul_f64 v[60:61], v[126:127], v[172:173]
	v_mul_f64 v[92:93], v[118:119], v[70:71]
	v_fma_f64 v[98:99], v[124:125], v[174:175], -v[60:61]
	v_add_f64 v[60:61], v[52:53], v[56:57]
	v_fmac_f64_e32 v[92:93], v[116:117], v[68:69]
	v_add_f64 v[68:69], v[60:61], v[72:73]
	v_add_f64 v[60:61], v[56:57], v[72:73]
	v_fmac_f64_e32 v[52:53], -0.5, v[60:61]
	v_add_f64 v[60:61], v[58:59], -v[74:75]
	v_fma_f64 v[70:71], s[8:9], v[60:61], v[52:53]
	v_fmac_f64_e32 v[52:53], s[6:7], v[60:61]
	v_add_f64 v[60:61], v[54:55], v[58:59]
	v_add_f64 v[58:59], v[58:59], v[74:75]
	v_mul_f64 v[80:81], v[106:107], v[170:171]
	v_fmac_f64_e32 v[54:55], -0.5, v[58:59]
	v_add_f64 v[56:57], v[56:57], -v[72:73]
	v_fmac_f64_e32 v[80:81], v[104:105], v[168:169]
	v_mul_f64 v[82:83], v[106:107], v[168:169]
	v_add_f64 v[102:103], v[60:61], v[74:75]
	v_fma_f64 v[74:75], s[6:7], v[56:57], v[54:55]
	v_fmac_f64_e32 v[54:55], s[8:9], v[56:57]
	v_add_f64 v[56:57], v[176:177], v[64:65]
	v_fma_f64 v[82:83], v[104:105], v[170:171], -v[82:83]
	v_add_f64 v[72:73], v[56:57], v[80:81]
	v_add_f64 v[56:57], v[64:65], v[80:81]
	v_fmac_f64_e32 v[176:177], -0.5, v[56:57]
	v_add_f64 v[56:57], v[66:67], -v[82:83]
	v_fma_f64 v[62:63], s[8:9], v[56:57], v[176:177]
	v_fmac_f64_e32 v[176:177], s[6:7], v[56:57]
	v_add_f64 v[56:57], v[100:101], v[66:67]
	v_add_f64 v[104:105], v[56:57], v[82:83]
	;; [unrolled: 1-line block ×3, first 2 shown]
	v_fmac_f64_e32 v[100:101], -0.5, v[56:57]
	v_add_f64 v[56:57], v[64:65], -v[80:81]
	v_fma_f64 v[66:67], s[6:7], v[56:57], v[100:101]
	v_fmac_f64_e32 v[100:101], s[8:9], v[56:57]
	v_mul_f64 v[80:81], v[66:67], s[8:9]
	v_fmac_f64_e32 v[80:81], 0.5, v[62:63]
	v_mul_f64 v[82:83], v[100:101], s[8:9]
	v_mul_f64 v[100:101], v[100:101], -0.5
	v_add_f64 v[56:57], v[68:69], v[72:73]
	v_add_f64 v[60:61], v[70:71], v[80:81]
	v_fmac_f64_e32 v[100:101], s[6:7], v[176:177]
	v_add_f64 v[68:69], v[68:69], -v[72:73]
	v_add_f64 v[72:73], v[70:71], -v[80:81]
	v_add_f64 v[80:81], v[48:49], v[92:93]
	v_mul_f64 v[106:107], v[66:67], 0.5
	v_add_f64 v[66:67], v[54:55], v[100:101]
	v_add_f64 v[54:55], v[54:55], -v[100:101]
	v_add_f64 v[100:101], v[80:81], v[78:79]
	v_add_f64 v[80:81], v[92:93], v[78:79]
	v_fmac_f64_e32 v[48:49], -0.5, v[80:81]
	v_add_f64 v[80:81], v[94:95], -v[84:85]
	v_add_f64 v[58:59], v[102:103], v[104:105]
	v_add_f64 v[70:71], v[102:103], -v[104:105]
	v_fma_f64 v[102:103], s[8:9], v[80:81], v[48:49]
	v_fmac_f64_e32 v[48:49], s[6:7], v[80:81]
	v_add_f64 v[80:81], v[50:51], v[94:95]
	v_add_f64 v[104:105], v[80:81], v[84:85]
	;; [unrolled: 1-line block ×3, first 2 shown]
	v_mul_f64 v[86:87], v[126:127], v[174:175]
	v_fmac_f64_e32 v[50:51], -0.5, v[80:81]
	v_add_f64 v[78:79], v[92:93], -v[78:79]
	v_fmac_f64_e32 v[86:87], v[124:125], v[172:173]
	v_fma_f64 v[94:95], s[6:7], v[78:79], v[50:51]
	v_fmac_f64_e32 v[50:51], s[8:9], v[78:79]
	v_add_f64 v[78:79], v[88:89], v[96:97]
	v_add_f64 v[92:93], v[78:79], v[86:87]
	;; [unrolled: 1-line block ×3, first 2 shown]
	v_fmac_f64_e32 v[82:83], -0.5, v[176:177]
	v_fmac_f64_e32 v[88:89], -0.5, v[78:79]
	v_add_f64 v[78:79], v[76:77], -v[98:99]
	v_add_f64 v[64:65], v[52:53], v[82:83]
	v_add_f64 v[52:53], v[52:53], -v[82:83]
	v_fma_f64 v[82:83], s[8:9], v[78:79], v[88:89]
	v_fmac_f64_e32 v[88:89], s[6:7], v[78:79]
	v_add_f64 v[78:79], v[90:91], v[76:77]
	v_add_f64 v[76:77], v[76:77], v[98:99]
	v_fmac_f64_e32 v[90:91], -0.5, v[76:77]
	v_add_f64 v[76:77], v[96:97], -v[86:87]
	v_fmac_f64_e32 v[106:107], s[6:7], v[62:63]
	v_fma_f64 v[86:87], s[6:7], v[76:77], v[90:91]
	v_fmac_f64_e32 v[90:91], s[8:9], v[76:77]
	v_add_f64 v[62:63], v[74:75], v[106:107]
	v_add_f64 v[74:75], v[74:75], -v[106:107]
	v_add_f64 v[106:107], v[78:79], v[98:99]
	v_mul_f64 v[96:97], v[86:87], s[8:9]
	v_mul_f64 v[98:99], v[90:91], s[8:9]
	v_mul_f64 v[108:109], v[86:87], 0.5
	v_mul_f64 v[110:111], v[90:91], -0.5
	v_fmac_f64_e32 v[96:97], 0.5, v[82:83]
	v_fmac_f64_e32 v[98:99], -0.5, v[88:89]
	v_fmac_f64_e32 v[108:109], s[6:7], v[82:83]
	v_fmac_f64_e32 v[110:111], s[6:7], v[88:89]
	v_add_f64 v[76:77], v[100:101], v[92:93]
	v_add_f64 v[80:81], v[102:103], v[96:97]
	;; [unrolled: 1-line block ×6, first 2 shown]
	v_add_f64 v[88:89], v[100:101], -v[92:93]
	v_add_f64 v[92:93], v[102:103], -v[96:97]
	;; [unrolled: 1-line block ×6, first 2 shown]
	s_barrier
	ds_write_b128 v200, v[56:59]
	ds_write_b128 v200, v[60:63] offset:576
	ds_write_b128 v200, v[64:67] offset:1152
	;; [unrolled: 1-line block ×5, first 2 shown]
	ds_write_b128 v201, v[76:79]
	ds_write_b128 v201, v[80:83] offset:576
	ds_write_b128 v201, v[84:87] offset:1152
	;; [unrolled: 1-line block ×5, first 2 shown]
	s_waitcnt lgkmcnt(0)
	s_barrier
	ds_read_b128 v[52:55], v193
	ds_read_b128 v[48:51], v193 offset:1728
	ds_read_b128 v[56:59], v193 offset:3456
	;; [unrolled: 1-line block ×11, first 2 shown]
	s_waitcnt lgkmcnt(9)
	v_mul_f64 v[96:97], v[142:143], v[58:59]
	v_fmac_f64_e32 v[96:97], v[140:141], v[56:57]
	v_mul_f64 v[56:57], v[142:143], v[56:57]
	v_fma_f64 v[98:99], v[140:141], v[58:59], -v[56:57]
	s_waitcnt lgkmcnt(7)
	v_mul_f64 v[56:57], v[138:139], v[66:67]
	v_fmac_f64_e32 v[56:57], v[136:137], v[64:65]
	v_mul_f64 v[58:59], v[138:139], v[64:65]
	s_waitcnt lgkmcnt(5)
	v_mul_f64 v[64:65], v[134:135], v[74:75]
	v_fma_f64 v[58:59], v[136:137], v[66:67], -v[58:59]
	v_fmac_f64_e32 v[64:65], v[132:133], v[72:73]
	v_mul_f64 v[66:67], v[134:135], v[72:73]
	s_waitcnt lgkmcnt(3)
	v_mul_f64 v[72:73], v[130:131], v[82:83]
	v_fma_f64 v[66:67], v[132:133], v[74:75], -v[66:67]
	;; [unrolled: 5-line block ×3, first 2 shown]
	v_fmac_f64_e32 v[80:81], v[144:145], v[88:89]
	v_mul_f64 v[82:83], v[146:147], v[88:89]
	v_mul_f64 v[88:89], v[162:163], v[62:63]
	v_fmac_f64_e32 v[88:89], v[160:161], v[60:61]
	v_mul_f64 v[60:61], v[162:163], v[60:61]
	v_fma_f64 v[82:83], v[144:145], v[90:91], -v[82:83]
	v_fma_f64 v[90:91], v[160:161], v[62:63], -v[60:61]
	v_mul_f64 v[60:61], v[158:159], v[68:69]
	v_fma_f64 v[102:103], v[156:157], v[70:71], -v[60:61]
	v_mul_f64 v[104:105], v[154:155], v[78:79]
	v_mul_f64 v[60:61], v[154:155], v[76:77]
	v_fmac_f64_e32 v[104:105], v[152:153], v[76:77]
	v_fma_f64 v[76:77], v[152:153], v[78:79], -v[60:61]
	v_mul_f64 v[78:79], v[150:151], v[86:87]
	v_mul_f64 v[60:61], v[150:151], v[84:85]
	v_fmac_f64_e32 v[78:79], v[148:149], v[84:85]
	v_fma_f64 v[84:85], v[148:149], v[86:87], -v[60:61]
	s_waitcnt lgkmcnt(0)
	v_mul_f64 v[86:87], v[166:167], v[94:95]
	v_mul_f64 v[60:61], v[166:167], v[92:93]
	;; [unrolled: 1-line block ×3, first 2 shown]
	v_fmac_f64_e32 v[86:87], v[164:165], v[92:93]
	v_fma_f64 v[92:93], v[164:165], v[94:95], -v[60:61]
	v_add_f64 v[60:61], v[52:53], v[56:57]
	v_fmac_f64_e32 v[100:101], v[156:157], v[68:69]
	v_add_f64 v[68:69], v[60:61], v[72:73]
	v_add_f64 v[60:61], v[56:57], v[72:73]
	v_fmac_f64_e32 v[52:53], -0.5, v[60:61]
	v_add_f64 v[60:61], v[58:59], -v[74:75]
	v_fma_f64 v[70:71], s[8:9], v[60:61], v[52:53]
	v_fmac_f64_e32 v[52:53], s[6:7], v[60:61]
	v_add_f64 v[60:61], v[54:55], v[58:59]
	v_add_f64 v[58:59], v[58:59], v[74:75]
	v_fmac_f64_e32 v[54:55], -0.5, v[58:59]
	v_add_f64 v[56:57], v[56:57], -v[72:73]
	v_add_f64 v[94:95], v[60:61], v[74:75]
	v_fma_f64 v[74:75], s[6:7], v[56:57], v[54:55]
	v_fmac_f64_e32 v[54:55], s[8:9], v[56:57]
	v_add_f64 v[56:57], v[96:97], v[64:65]
	v_add_f64 v[72:73], v[56:57], v[80:81]
	;; [unrolled: 1-line block ×3, first 2 shown]
	v_fmac_f64_e32 v[96:97], -0.5, v[56:57]
	v_add_f64 v[56:57], v[66:67], -v[82:83]
	v_fma_f64 v[62:63], s[8:9], v[56:57], v[96:97]
	v_fmac_f64_e32 v[96:97], s[6:7], v[56:57]
	v_add_f64 v[56:57], v[98:99], v[66:67]
	v_add_f64 v[106:107], v[56:57], v[82:83]
	;; [unrolled: 1-line block ×3, first 2 shown]
	v_fmac_f64_e32 v[98:99], -0.5, v[56:57]
	v_add_f64 v[56:57], v[64:65], -v[80:81]
	v_fma_f64 v[66:67], s[6:7], v[56:57], v[98:99]
	v_mul_f64 v[80:81], v[66:67], s[8:9]
	v_fmac_f64_e32 v[80:81], 0.5, v[62:63]
	v_fmac_f64_e32 v[98:99], s[8:9], v[56:57]
	v_add_f64 v[56:57], v[68:69], v[72:73]
	v_add_f64 v[60:61], v[70:71], v[80:81]
	v_add_f64 v[68:69], v[68:69], -v[72:73]
	v_add_f64 v[72:73], v[70:71], -v[80:81]
	v_add_f64 v[80:81], v[48:49], v[100:101]
	v_add_f64 v[58:59], v[94:95], v[106:107]
	v_add_f64 v[70:71], v[94:95], -v[106:107]
	v_add_f64 v[94:95], v[80:81], v[78:79]
	v_add_f64 v[80:81], v[100:101], v[78:79]
	v_mul_f64 v[82:83], v[98:99], s[8:9]
	v_mul_f64 v[98:99], v[98:99], -0.5
	v_fmac_f64_e32 v[48:49], -0.5, v[80:81]
	v_add_f64 v[80:81], v[102:103], -v[84:85]
	v_fmac_f64_e32 v[82:83], -0.5, v[96:97]
	v_fmac_f64_e32 v[98:99], s[6:7], v[96:97]
	v_fma_f64 v[96:97], s[8:9], v[80:81], v[48:49]
	v_fmac_f64_e32 v[48:49], s[6:7], v[80:81]
	v_add_f64 v[80:81], v[50:51], v[102:103]
	v_mul_f64 v[108:109], v[66:67], 0.5
	v_add_f64 v[66:67], v[54:55], v[98:99]
	v_add_f64 v[54:55], v[54:55], -v[98:99]
	v_add_f64 v[98:99], v[80:81], v[84:85]
	v_add_f64 v[80:81], v[102:103], v[84:85]
	v_fmac_f64_e32 v[50:51], -0.5, v[80:81]
	v_add_f64 v[78:79], v[100:101], -v[78:79]
	v_fma_f64 v[100:101], s[6:7], v[78:79], v[50:51]
	v_fmac_f64_e32 v[50:51], s[8:9], v[78:79]
	v_add_f64 v[78:79], v[88:89], v[104:105]
	v_add_f64 v[102:103], v[78:79], v[86:87]
	;; [unrolled: 1-line block ×3, first 2 shown]
	v_fmac_f64_e32 v[88:89], -0.5, v[78:79]
	v_add_f64 v[78:79], v[76:77], -v[92:93]
	v_add_f64 v[64:65], v[52:53], v[82:83]
	v_add_f64 v[52:53], v[52:53], -v[82:83]
	v_fma_f64 v[82:83], s[8:9], v[78:79], v[88:89]
	v_fmac_f64_e32 v[88:89], s[6:7], v[78:79]
	v_add_f64 v[78:79], v[90:91], v[76:77]
	v_add_f64 v[76:77], v[76:77], v[92:93]
	v_fmac_f64_e32 v[90:91], -0.5, v[76:77]
	v_add_f64 v[76:77], v[104:105], -v[86:87]
	v_fma_f64 v[86:87], s[6:7], v[76:77], v[90:91]
	v_fmac_f64_e32 v[90:91], s[8:9], v[76:77]
	v_fmac_f64_e32 v[108:109], s[6:7], v[62:63]
	v_mul_f64 v[104:105], v[90:91], s[8:9]
	v_mul_f64 v[110:111], v[90:91], -0.5
	v_add_f64 v[62:63], v[74:75], v[108:109]
	v_add_f64 v[74:75], v[74:75], -v[108:109]
	v_add_f64 v[106:107], v[78:79], v[92:93]
	v_mul_f64 v[92:93], v[86:87], s[8:9]
	v_fmac_f64_e32 v[104:105], -0.5, v[88:89]
	v_mul_f64 v[108:109], v[86:87], 0.5
	v_fmac_f64_e32 v[110:111], s[6:7], v[88:89]
	v_fmac_f64_e32 v[92:93], 0.5, v[82:83]
	v_add_f64 v[84:85], v[48:49], v[104:105]
	v_fmac_f64_e32 v[108:109], s[6:7], v[82:83]
	v_add_f64 v[86:87], v[50:51], v[110:111]
	v_add_f64 v[48:49], v[48:49], -v[104:105]
	v_add_f64 v[50:51], v[50:51], -v[110:111]
	v_add_f64 v[76:77], v[94:95], v[102:103]
	v_add_f64 v[80:81], v[96:97], v[92:93]
	;; [unrolled: 1-line block ×4, first 2 shown]
	v_add_f64 v[88:89], v[94:95], -v[102:103]
	v_add_f64 v[92:93], v[96:97], -v[92:93]
	;; [unrolled: 1-line block ×4, first 2 shown]
	ds_write_b128 v193, v[56:59]
	ds_write_b128 v193, v[60:63] offset:3456
	ds_write_b128 v193, v[64:67] offset:6912
	;; [unrolled: 1-line block ×11, first 2 shown]
	s_waitcnt lgkmcnt(0)
	s_barrier
	ds_read_b128 v[48:51], v193
	v_mad_u64_u32 v[52:53], s[2:3], s3, v188, v[192:193]
	v_mov_b32_e32 v191, v52
	ds_read_b128 v[52:55], v193 offset:1728
	s_waitcnt lgkmcnt(1)
	v_mul_f64 v[56:57], v[6:7], v[50:51]
	s_mov_b32 s2, 0xfcd6e9e0
	v_mul_f64 v[6:7], v[6:7], v[48:49]
	v_fmac_f64_e32 v[56:57], v[4:5], v[48:49]
	s_mov_b32 s3, 0x3f4948b0
	v_fma_f64 v[4:5], v[4:5], v[50:51], -v[6:7]
	v_mul_f64 v[58:59], v[4:5], s[2:3]
	v_mad_u64_u32 v[4:5], s[6:7], s0, v194, 0
	v_mov_b32_e32 v6, v5
	v_mad_u64_u32 v[6:7], s[6:7], s1, v194, v[6:7]
	v_mov_b32_e32 v5, v6
	v_lshlrev_b64 v[6:7], 4, v[190:191]
	v_mov_b32_e32 v48, s5
	v_add_co_u32_e32 v50, vcc, s4, v6
	v_addc_co_u32_e32 v51, vcc, v48, v7, vcc
	v_lshlrev_b64 v[48:49], 4, v[4:5]
	ds_read_b128 v[4:7], v193 offset:3456
	v_add_co_u32_e32 v60, vcc, v50, v48
	v_mul_f64 v[56:57], v[56:57], s[2:3]
	v_addc_co_u32_e32 v61, vcc, v51, v49, vcc
	ds_read_b128 v[48:51], v193 offset:5184
	global_store_dwordx4 v[60:61], v[56:59], off
	v_mad_u64_u32 v[60:61], s[4:5], s0, v189, v[60:61]
	s_waitcnt lgkmcnt(1)
	v_mul_f64 v[56:57], v[2:3], v[6:7]
	v_mul_f64 v[2:3], v[2:3], v[4:5]
	v_fmac_f64_e32 v[56:57], v[0:1], v[4:5]
	v_fma_f64 v[0:1], v[0:1], v[6:7], -v[2:3]
	v_mul_f64 v[58:59], v[0:1], s[2:3]
	ds_read_b128 v[0:3], v193 offset:6912
	ds_read_b128 v[4:7], v193 offset:8640
	s_mul_i32 s4, s1, 0xd80
	v_mul_f64 v[56:57], v[56:57], s[2:3]
	v_add_u32_e32 v61, s4, v61
	global_store_dwordx4 v[60:61], v[56:59], off
	v_mad_u64_u32 v[60:61], s[6:7], s0, v189, v[60:61]
	s_waitcnt lgkmcnt(1)
	v_mul_f64 v[56:57], v[10:11], v[2:3]
	v_fmac_f64_e32 v[56:57], v[8:9], v[0:1]
	v_mul_f64 v[0:1], v[10:11], v[0:1]
	v_fma_f64 v[0:1], v[8:9], v[2:3], -v[0:1]
	v_mul_f64 v[58:59], v[0:1], s[2:3]
	ds_read_b128 v[0:3], v193 offset:10368
	ds_read_b128 v[8:11], v193 offset:12096
	v_mul_f64 v[56:57], v[56:57], s[2:3]
	v_add_u32_e32 v61, s4, v61
	global_store_dwordx4 v[60:61], v[56:59], off
	v_mad_u64_u32 v[60:61], s[6:7], s0, v189, v[60:61]
	s_waitcnt lgkmcnt(1)
	v_mul_f64 v[56:57], v[14:15], v[2:3]
	v_fmac_f64_e32 v[56:57], v[12:13], v[0:1]
	v_mul_f64 v[0:1], v[14:15], v[0:1]
	v_fma_f64 v[0:1], v[12:13], v[2:3], -v[0:1]
	v_mul_f64 v[58:59], v[0:1], s[2:3]
	ds_read_b128 v[0:3], v193 offset:13824
	ds_read_b128 v[12:15], v193 offset:15552
	;; [unrolled: 12-line block ×3, first 2 shown]
	v_mul_f64 v[56:57], v[56:57], s[2:3]
	v_add_u32_e32 v61, s4, v61
	global_store_dwordx4 v[60:61], v[56:59], off
	s_mulk_i32 s1, 0xc340
	s_waitcnt lgkmcnt(1)
	v_mul_f64 v[56:57], v[22:23], v[2:3]
	v_fmac_f64_e32 v[56:57], v[20:21], v[0:1]
	v_mul_f64 v[0:1], v[22:23], v[0:1]
	v_fma_f64 v[0:1], v[20:21], v[2:3], -v[0:1]
	v_mad_u64_u32 v[20:21], s[6:7], s0, v189, v[60:61]
	v_mul_f64 v[56:57], v[56:57], s[2:3]
	v_mul_f64 v[58:59], v[0:1], s[2:3]
	v_add_u32_e32 v21, s4, v21
	v_mul_f64 v[0:1], v[26:27], v[54:55]
	v_mul_f64 v[2:3], v[26:27], v[52:53]
	global_store_dwordx4 v[20:21], v[56:59], off
	v_fmac_f64_e32 v[0:1], v[24:25], v[52:53]
	v_fma_f64 v[2:3], v[24:25], v[54:55], -v[2:3]
	v_mad_u64_u32 v[20:21], s[6:7], s0, v195, v[20:21]
	s_sub_i32 s1, s1, s0
	v_mul_f64 v[0:1], v[0:1], s[2:3]
	v_mul_f64 v[2:3], v[2:3], s[2:3]
	v_add_u32_e32 v21, s1, v21
	global_store_dwordx4 v[20:21], v[0:3], off
	v_mad_u64_u32 v[20:21], s[6:7], s0, v189, v[20:21]
	v_mul_f64 v[0:1], v[30:31], v[50:51]
	v_mul_f64 v[2:3], v[30:31], v[48:49]
	v_fmac_f64_e32 v[0:1], v[28:29], v[48:49]
	v_fma_f64 v[2:3], v[28:29], v[50:51], -v[2:3]
	v_mul_f64 v[0:1], v[0:1], s[2:3]
	v_mul_f64 v[2:3], v[2:3], s[2:3]
	v_add_u32_e32 v21, s4, v21
	global_store_dwordx4 v[20:21], v[0:3], off
	s_nop 0
	v_mul_f64 v[0:1], v[34:35], v[6:7]
	v_mul_f64 v[2:3], v[34:35], v[4:5]
	v_fmac_f64_e32 v[0:1], v[32:33], v[4:5]
	v_fma_f64 v[2:3], v[32:33], v[6:7], -v[2:3]
	v_mad_u64_u32 v[4:5], s[6:7], s0, v189, v[20:21]
	v_mul_f64 v[0:1], v[0:1], s[2:3]
	v_mul_f64 v[2:3], v[2:3], s[2:3]
	v_add_u32_e32 v5, s4, v5
	global_store_dwordx4 v[4:5], v[0:3], off
	v_mad_u64_u32 v[4:5], s[6:7], s0, v189, v[4:5]
	v_mul_f64 v[0:1], v[38:39], v[10:11]
	v_mul_f64 v[2:3], v[38:39], v[8:9]
	v_fmac_f64_e32 v[0:1], v[36:37], v[8:9]
	v_fma_f64 v[2:3], v[36:37], v[10:11], -v[2:3]
	v_mul_f64 v[0:1], v[0:1], s[2:3]
	v_mul_f64 v[2:3], v[2:3], s[2:3]
	v_add_u32_e32 v5, s4, v5
	global_store_dwordx4 v[4:5], v[0:3], off
	v_mad_u64_u32 v[4:5], s[6:7], s0, v189, v[4:5]
	v_mul_f64 v[0:1], v[42:43], v[14:15]
	v_mul_f64 v[2:3], v[42:43], v[12:13]
	v_fmac_f64_e32 v[0:1], v[40:41], v[12:13]
	v_fma_f64 v[2:3], v[40:41], v[14:15], -v[2:3]
	v_mul_f64 v[0:1], v[0:1], s[2:3]
	v_mul_f64 v[2:3], v[2:3], s[2:3]
	v_add_u32_e32 v5, s4, v5
	global_store_dwordx4 v[4:5], v[0:3], off
	v_mad_u64_u32 v[4:5], s[0:1], s0, v189, v[4:5]
	s_waitcnt lgkmcnt(0)
	v_mul_f64 v[0:1], v[46:47], v[18:19]
	v_mul_f64 v[2:3], v[46:47], v[16:17]
	v_fmac_f64_e32 v[0:1], v[44:45], v[16:17]
	v_fma_f64 v[2:3], v[44:45], v[18:19], -v[2:3]
	v_mul_f64 v[0:1], v[0:1], s[2:3]
	v_mul_f64 v[2:3], v[2:3], s[2:3]
	v_add_u32_e32 v5, s4, v5
	global_store_dwordx4 v[4:5], v[0:3], off
.LBB0_2:
	s_endpgm
	.section	.rodata,"a",@progbits
	.p2align	6, 0x0
	.amdhsa_kernel bluestein_single_back_len1296_dim1_dp_op_CI_CI
		.amdhsa_group_segment_fixed_size 20736
		.amdhsa_private_segment_fixed_size 0
		.amdhsa_kernarg_size 104
		.amdhsa_user_sgpr_count 6
		.amdhsa_user_sgpr_private_segment_buffer 1
		.amdhsa_user_sgpr_dispatch_ptr 0
		.amdhsa_user_sgpr_queue_ptr 0
		.amdhsa_user_sgpr_kernarg_segment_ptr 1
		.amdhsa_user_sgpr_dispatch_id 0
		.amdhsa_user_sgpr_flat_scratch_init 0
		.amdhsa_user_sgpr_kernarg_preload_length 0
		.amdhsa_user_sgpr_kernarg_preload_offset 0
		.amdhsa_user_sgpr_private_segment_size 0
		.amdhsa_uses_dynamic_stack 0
		.amdhsa_system_sgpr_private_segment_wavefront_offset 0
		.amdhsa_system_sgpr_workgroup_id_x 1
		.amdhsa_system_sgpr_workgroup_id_y 0
		.amdhsa_system_sgpr_workgroup_id_z 0
		.amdhsa_system_sgpr_workgroup_info 0
		.amdhsa_system_vgpr_workitem_id 0
		.amdhsa_next_free_vgpr 246
		.amdhsa_next_free_sgpr 20
		.amdhsa_accum_offset 248
		.amdhsa_reserve_vcc 1
		.amdhsa_reserve_flat_scratch 0
		.amdhsa_float_round_mode_32 0
		.amdhsa_float_round_mode_16_64 0
		.amdhsa_float_denorm_mode_32 3
		.amdhsa_float_denorm_mode_16_64 3
		.amdhsa_dx10_clamp 1
		.amdhsa_ieee_mode 1
		.amdhsa_fp16_overflow 0
		.amdhsa_tg_split 0
		.amdhsa_exception_fp_ieee_invalid_op 0
		.amdhsa_exception_fp_denorm_src 0
		.amdhsa_exception_fp_ieee_div_zero 0
		.amdhsa_exception_fp_ieee_overflow 0
		.amdhsa_exception_fp_ieee_underflow 0
		.amdhsa_exception_fp_ieee_inexact 0
		.amdhsa_exception_int_div_zero 0
	.end_amdhsa_kernel
	.text
.Lfunc_end0:
	.size	bluestein_single_back_len1296_dim1_dp_op_CI_CI, .Lfunc_end0-bluestein_single_back_len1296_dim1_dp_op_CI_CI
                                        ; -- End function
	.section	.AMDGPU.csdata,"",@progbits
; Kernel info:
; codeLenInByte = 12340
; NumSgprs: 24
; NumVgprs: 246
; NumAgprs: 0
; TotalNumVgprs: 246
; ScratchSize: 0
; MemoryBound: 0
; FloatMode: 240
; IeeeMode: 1
; LDSByteSize: 20736 bytes/workgroup (compile time only)
; SGPRBlocks: 2
; VGPRBlocks: 30
; NumSGPRsForWavesPerEU: 24
; NumVGPRsForWavesPerEU: 246
; AccumOffset: 248
; Occupancy: 2
; WaveLimiterHint : 1
; COMPUTE_PGM_RSRC2:SCRATCH_EN: 0
; COMPUTE_PGM_RSRC2:USER_SGPR: 6
; COMPUTE_PGM_RSRC2:TRAP_HANDLER: 0
; COMPUTE_PGM_RSRC2:TGID_X_EN: 1
; COMPUTE_PGM_RSRC2:TGID_Y_EN: 0
; COMPUTE_PGM_RSRC2:TGID_Z_EN: 0
; COMPUTE_PGM_RSRC2:TIDIG_COMP_CNT: 0
; COMPUTE_PGM_RSRC3_GFX90A:ACCUM_OFFSET: 61
; COMPUTE_PGM_RSRC3_GFX90A:TG_SPLIT: 0
	.text
	.p2alignl 6, 3212836864
	.fill 256, 4, 3212836864
	.type	__hip_cuid_2797f89994a20617,@object ; @__hip_cuid_2797f89994a20617
	.section	.bss,"aw",@nobits
	.globl	__hip_cuid_2797f89994a20617
__hip_cuid_2797f89994a20617:
	.byte	0                               ; 0x0
	.size	__hip_cuid_2797f89994a20617, 1

	.ident	"AMD clang version 19.0.0git (https://github.com/RadeonOpenCompute/llvm-project roc-6.4.0 25133 c7fe45cf4b819c5991fe208aaa96edf142730f1d)"
	.section	".note.GNU-stack","",@progbits
	.addrsig
	.addrsig_sym __hip_cuid_2797f89994a20617
	.amdgpu_metadata
---
amdhsa.kernels:
  - .agpr_count:     0
    .args:
      - .actual_access:  read_only
        .address_space:  global
        .offset:         0
        .size:           8
        .value_kind:     global_buffer
      - .actual_access:  read_only
        .address_space:  global
        .offset:         8
        .size:           8
        .value_kind:     global_buffer
      - .actual_access:  read_only
        .address_space:  global
        .offset:         16
        .size:           8
        .value_kind:     global_buffer
      - .actual_access:  read_only
        .address_space:  global
        .offset:         24
        .size:           8
        .value_kind:     global_buffer
      - .actual_access:  read_only
        .address_space:  global
        .offset:         32
        .size:           8
        .value_kind:     global_buffer
      - .offset:         40
        .size:           8
        .value_kind:     by_value
      - .address_space:  global
        .offset:         48
        .size:           8
        .value_kind:     global_buffer
      - .address_space:  global
        .offset:         56
        .size:           8
        .value_kind:     global_buffer
      - .address_space:  global
        .offset:         64
        .size:           8
        .value_kind:     global_buffer
      - .address_space:  global
        .offset:         72
        .size:           8
        .value_kind:     global_buffer
      - .offset:         80
        .size:           4
        .value_kind:     by_value
      - .address_space:  global
        .offset:         88
        .size:           8
        .value_kind:     global_buffer
      - .address_space:  global
        .offset:         96
        .size:           8
        .value_kind:     global_buffer
    .group_segment_fixed_size: 20736
    .kernarg_segment_align: 8
    .kernarg_segment_size: 104
    .language:       OpenCL C
    .language_version:
      - 2
      - 0
    .max_flat_workgroup_size: 108
    .name:           bluestein_single_back_len1296_dim1_dp_op_CI_CI
    .private_segment_fixed_size: 0
    .sgpr_count:     24
    .sgpr_spill_count: 0
    .symbol:         bluestein_single_back_len1296_dim1_dp_op_CI_CI.kd
    .uniform_work_group_size: 1
    .uses_dynamic_stack: false
    .vgpr_count:     246
    .vgpr_spill_count: 0
    .wavefront_size: 64
amdhsa.target:   amdgcn-amd-amdhsa--gfx90a
amdhsa.version:
  - 1
  - 2
...

	.end_amdgpu_metadata
